;; amdgpu-corpus repo=LLNL/RAJAPerf kind=compiled arch=gfx906 opt=O3
	.amdgcn_target "amdgcn-amd-amdhsa--gfx906"
	.amdhsa_code_object_version 6
	.section	.text._ZN8rajaperf4apps8Mass3DEAILm64EEEvPdS2_S2_,"axG",@progbits,_ZN8rajaperf4apps8Mass3DEAILm64EEEvPdS2_S2_,comdat
	.protected	_ZN8rajaperf4apps8Mass3DEAILm64EEEvPdS2_S2_ ; -- Begin function _ZN8rajaperf4apps8Mass3DEAILm64EEEvPdS2_S2_
	.globl	_ZN8rajaperf4apps8Mass3DEAILm64EEEvPdS2_S2_
	.p2align	8
	.type	_ZN8rajaperf4apps8Mass3DEAILm64EEEvPdS2_S2_,@function
_ZN8rajaperf4apps8Mass3DEAILm64EEEvPdS2_S2_: ; @_ZN8rajaperf4apps8Mass3DEAILm64EEEvPdS2_S2_
; %bb.0:
	s_load_dwordx4 s[8:11], s[4:5], 0x0
	s_load_dwordx2 s[12:13], s[4:5], 0x10
	v_mov_b32_e32 v3, v1
	s_mov_b32 s7, 0
	v_cmp_eq_u32_e32 vcc, 0, v2
	s_and_saveexec_b64 s[4:5], vcc
	s_cbranch_execz .LBB0_4
; %bb.1:
	v_cmp_gt_u32_e64 s[0:1], 4, v0
	v_cmp_gt_u32_e64 s[2:3], 5, v3
	s_and_b64 s[0:1], s[0:1], s[2:3]
	s_and_b64 exec, exec, s[0:1]
	s_cbranch_execz .LBB0_4
; %bb.2:
	v_mov_b32_e32 v4, 0
	v_mul_u32_u24_e32 v1, 40, v0
	s_waitcnt lgkmcnt(0)
	v_mov_b32_e32 v6, s9
	v_add_co_u32_e64 v5, s[0:1], s8, v1
	v_lshlrev_b64 v[7:8], 3, v[3:4]
	v_addc_co_u32_e64 v6, s[0:1], 0, v6, s[0:1]
	v_add_co_u32_e64 v7, s[0:1], v5, v7
	v_addc_co_u32_e64 v8, s[0:1], v6, v8, s[0:1]
	global_load_dwordx2 v[7:8], v[7:8], off
	v_mov_b32_e32 v1, 0x3f0
	v_lshl_add_u32 v1, v0, 3, v1
	v_lshl_add_u32 v4, v3, 5, v1
	v_cmp_eq_u32_e64 s[0:1], 0, v3
	s_waitcnt vmcnt(0)
	ds_write_b64 v4, v[7:8]
	s_and_saveexec_b64 s[2:3], s[0:1]
	s_xor_b64 s[2:3], exec, s[2:3]
	s_cbranch_execz .LBB0_4
; %bb.3:
	global_load_dwordx2 v[4:5], v[5:6], off offset:32
	s_waitcnt vmcnt(0)
	ds_write_b64 v1, v[4:5] offset:128
.LBB0_4:
	s_or_b64 exec, exec, s[4:5]
	v_mov_b32_e32 v1, 0
	v_cmp_gt_u32_e64 s[0:1], 5, v0
	s_waitcnt lgkmcnt(0)
	s_and_saveexec_b64 s[8:9], s[0:1]
	s_cbranch_execz .LBB0_13
; %bb.5:
	s_mul_i32 s5, s6, 0x3e8
	s_mul_hi_u32 s4, s6, 0x3e8
	s_add_u32 s20, s10, s5
	v_mov_b32_e32 v6, v1
	v_mov_b32_e32 v4, v1
	v_cmp_gt_u32_e64 s[0:1], 5, v3
	v_cmp_gt_u32_e64 s[2:3], 5, v2
	s_addc_u32 s21, s11, s4
	s_movk_i32 s22, 0xc8
	v_mul_u32_u24_e32 v13, 0xc8, v2
	s_mov_b64 s[10:11], 0
	v_mov_b32_e32 v5, v0
	s_branch .LBB0_7
.LBB0_6:                                ;   in Loop: Header=BB0_7 Depth=1
	s_or_b64 exec, exec, s[14:15]
	v_cmp_ne_u64_e64 s[4:5], 0, v[5:6]
	v_mov_b32_e32 v5, 4
	s_or_b64 s[10:11], s[4:5], s[10:11]
	v_mov_b32_e32 v6, 0
	s_andn2_b64 exec, exec, s[10:11]
	s_cbranch_execz .LBB0_13
.LBB0_7:                                ; =>This Loop Header: Depth=1
                                        ;     Child Loop BB0_10 Depth 2
	s_and_saveexec_b64 s[14:15], s[0:1]
	s_cbranch_execz .LBB0_6
; %bb.8:                                ;   in Loop: Header=BB0_7 Depth=1
	v_lshlrev_b64 v[7:8], 3, v[5:6]
	v_mul_lo_u32 v1, v5, s22
	v_mov_b32_e32 v9, s21
	v_add_co_u32_e64 v14, s[4:5], s20, v7
	v_addc_co_u32_e64 v15, s[4:5], v9, v8, s[4:5]
	v_mov_b32_e32 v8, v4
	s_mov_b64 s[16:17], 0
	v_mov_b32_e32 v7, v3
	s_branch .LBB0_10
.LBB0_9:                                ;   in Loop: Header=BB0_10 Depth=2
	s_or_b64 exec, exec, s[18:19]
	v_cmp_ne_u64_e64 s[4:5], 0, v[7:8]
	v_mov_b32_e32 v7, 4
	s_or_b64 s[16:17], s[4:5], s[16:17]
	v_mov_b32_e32 v8, 0
	s_andn2_b64 exec, exec, s[16:17]
	s_cbranch_execz .LBB0_6
.LBB0_10:                               ;   Parent Loop BB0_7 Depth=1
                                        ; =>  This Inner Loop Header: Depth=2
	s_and_saveexec_b64 s[18:19], s[2:3]
	s_cbranch_execz .LBB0_9
; %bb.11:                               ;   in Loop: Header=BB0_10 Depth=2
	v_mul_i32_i24_e32 v9, 40, v7
	v_mul_hi_i32_i24_e32 v10, 40, v7
	v_add_co_u32_e64 v9, s[4:5], v14, v9
	v_addc_co_u32_e64 v10, s[4:5], v15, v10, s[4:5]
	v_add_co_u32_e64 v11, s[4:5], v9, v13
	v_addc_co_u32_e64 v12, s[4:5], 0, v10, s[4:5]
	global_load_dwordx2 v[16:17], v[11:12], off
	v_mad_u64_u32 v[11:12], s[4:5], v7, 40, v[1:2]
	v_lshl_add_u32 v12, v2, 3, v11
	s_waitcnt vmcnt(0)
	ds_write_b64 v12, v[16:17]
	s_and_b64 exec, exec, vcc
	s_cbranch_execz .LBB0_9
; %bb.12:                               ;   in Loop: Header=BB0_10 Depth=2
	global_load_dwordx2 v[9:10], v[9:10], off offset:800
	s_waitcnt vmcnt(0)
	ds_write_b64 v11, v[9:10] offset:32
	s_branch .LBB0_9
.LBB0_13:
	s_or_b64 exec, exec, s[8:9]
	v_cmp_gt_u32_e32 vcc, 4, v0
	s_waitcnt lgkmcnt(0)
	; wave barrier
	s_and_saveexec_b64 s[0:1], vcc
	s_cbranch_execz .LBB0_33
; %bb.14:
	v_or_b32_e32 v1, v3, v2
	v_cmp_gt_u32_e32 vcc, 4, v1
	s_and_b64 exec, exec, vcc
	s_cbranch_execz .LBB0_33
; %bb.15:
	v_lshlrev_b32_e32 v1, 3, v0
	v_mov_b32_e32 v4, s13
	v_add_co_u32_e32 v1, vcc, s12, v1
	v_addc_co_u32_e32 v4, vcc, 0, v4, vcc
	v_lshlrev_b32_e32 v5, 5, v3
	v_add_co_u32_e32 v72, vcc, v1, v5
	v_lshlrev_b32_e32 v1, 3, v2
	v_addc_co_u32_e32 v73, vcc, 0, v4, vcc
	ds_read2_b64 v[4:7], v1 offset0:134 offset1:138
	ds_read2_b64 v[8:11], v1 offset0:126 offset1:130
	v_lshlrev_b32_e32 v12, 3, v3
	ds_read_b64 v[64:65], v1 offset:1136
	ds_read_b64 v[66:67], v12 offset:1136
	s_lshl_b64 s[0:1], s[6:7], 15
	v_mov_b32_e32 v1, 0x3f0
	v_mov_b32_e32 v52, 0
	v_lshl_add_u32 v75, v0, 3, v1
	v_mov_b32_e32 v0, s1
	v_add_co_u32_e32 v56, vcc, s0, v72
	v_lshlrev_b32_e32 v74, 7, v2
	v_addc_co_u32_e32 v57, vcc, v73, v0, vcc
	ds_read2_b64 v[0:3], v12 offset0:126 offset1:130
	ds_read2_b64 v[12:15], v12 offset0:134 offset1:138
	ds_read_b128 v[16:19], v52 offset:1008
	ds_read_b128 v[20:23], v52 offset:1024
	;; [unrolled: 1-line block ×10, first 2 shown]
	v_add_co_u32_e32 v76, vcc, v56, v74
	v_addc_co_u32_e32 v77, vcc, 0, v57, vcc
	s_movk_i32 s10, 0x3f0
	s_mov_b64 s[2:3], 0
.LBB0_16:                               ; =>This Loop Header: Depth=1
                                        ;     Child Loop BB0_17 Depth 2
                                        ;       Child Loop BB0_18 Depth 3
                                        ;     Child Loop BB0_21 Depth 2
                                        ;       Child Loop BB0_22 Depth 3
	;; [unrolled: 2-line block ×4, first 2 shown]
	s_lshl_b64 s[4:5], s[2:3], 9
	v_mov_b32_e32 v56, s5
	v_add_co_u32_e32 v78, vcc, s4, v76
	v_addc_co_u32_e32 v79, vcc, v77, v56, vcc
	s_mov_b64 s[6:7], 0
.LBB0_17:                               ;   Parent Loop BB0_16 Depth=1
                                        ; =>  This Loop Header: Depth=2
                                        ;       Child Loop BB0_18 Depth 3
	s_lshl_b32 s8, s6, 3
	v_mov_b32_e32 v68, s8
	ds_read2_b64 v[56:59], v68 offset0:126 offset1:130
	ds_read2_b64 v[60:63], v68 offset0:134 offset1:138
	ds_read_b64 v[68:69], v68 offset:1136
	v_mov_b32_e32 v70, 0
	v_mov_b32_e32 v71, 0
	s_mov_b64 s[8:9], 5
	s_mov_b32 s11, 0
	s_mov_b32 s12, s10
	v_mov_b32_e32 v80, v75
.LBB0_18:                               ;   Parent Loop BB0_16 Depth=1
                                        ;     Parent Loop BB0_17 Depth=2
                                        ; =>    This Inner Loop Header: Depth=3
	v_mov_b32_e32 v83, s12
	ds_read_b64 v[81:82], v80
	ds_read_b64 v[83:84], v83
	v_mov_b32_e32 v99, s11
	s_add_u32 s8, s8, -1
	s_addc_u32 s9, s9, -1
	s_addk_i32 s11, 0xc8
	s_waitcnt lgkmcnt(0)
	v_mul_f64 v[89:90], v[81:82], v[83:84]
	s_add_i32 s12, s12, 32
	s_cmp_lg_u64 s[8:9], 0
	v_add_u32_e32 v80, 32, v80
	v_mul_f64 v[81:82], v[89:90], v[0:1]
	v_mul_f64 v[91:92], v[81:82], v[16:17]
	;; [unrolled: 1-line block ×6, first 2 shown]
	ds_read2_b64 v[81:84], v99 offset1:1
	ds_read2_b64 v[85:88], v99 offset0:2 offset1:3
	v_mul_f64 v[93:94], v[93:94], v[58:59]
	v_mul_f64 v[97:98], v[97:98], v[60:61]
	s_waitcnt lgkmcnt(1)
	v_fma_f64 v[70:71], v[95:96], v[81:82], v[70:71]
	v_mul_f64 v[81:82], v[89:90], v[2:3]
	v_mul_f64 v[95:96], v[91:92], v[6:7]
	v_fma_f64 v[70:71], v[93:94], v[83:84], v[70:71]
	v_mul_f64 v[93:94], v[81:82], v[24:25]
	v_mul_f64 v[81:82], v[91:92], v[64:65]
	;; [unrolled: 1-line block ×3, first 2 shown]
	s_waitcnt lgkmcnt(0)
	v_fma_f64 v[70:71], v[97:98], v[85:86], v[70:71]
	v_mul_f64 v[91:92], v[93:94], v[8:9]
	v_mul_f64 v[95:96], v[81:82], v[68:69]
	;; [unrolled: 1-line block ×3, first 2 shown]
	v_fma_f64 v[70:71], v[83:84], v[87:88], v[70:71]
	ds_read2_b64 v[81:84], v99 offset0:4 offset1:5
	ds_read2_b64 v[85:88], v99 offset0:6 offset1:7
	v_mul_f64 v[91:92], v[91:92], v[56:57]
	s_waitcnt lgkmcnt(1)
	v_fma_f64 v[70:71], v[95:96], v[81:82], v[70:71]
	v_mul_f64 v[81:82], v[93:94], v[4:5]
	v_mul_f64 v[95:96], v[97:98], v[58:59]
	v_fma_f64 v[70:71], v[91:92], v[83:84], v[70:71]
	v_mul_f64 v[83:84], v[89:90], v[12:13]
	v_mul_f64 v[91:92], v[93:94], v[6:7]
	;; [unrolled: 1-line block ×4, first 2 shown]
	s_waitcnt lgkmcnt(0)
	v_fma_f64 v[70:71], v[95:96], v[85:86], v[70:71]
	v_mul_f64 v[95:96], v[83:84], v[32:33]
	v_mul_f64 v[91:92], v[91:92], v[62:63]
	;; [unrolled: 1-line block ×3, first 2 shown]
	v_fma_f64 v[70:71], v[81:82], v[87:88], v[70:71]
	ds_read2_b64 v[81:84], v99 offset0:8 offset1:9
	ds_read2_b64 v[85:88], v99 offset0:10 offset1:11
	v_mul_f64 v[97:98], v[95:96], v[8:9]
	s_waitcnt lgkmcnt(1)
	v_fma_f64 v[70:71], v[91:92], v[81:82], v[70:71]
	v_mul_f64 v[81:82], v[95:96], v[10:11]
	v_mul_f64 v[91:92], v[97:98], v[56:57]
	v_fma_f64 v[70:71], v[93:94], v[83:84], v[70:71]
	v_mul_f64 v[83:84], v[95:96], v[4:5]
	v_mul_f64 v[81:82], v[81:82], v[58:59]
	;; [unrolled: 1-line block ×4, first 2 shown]
	s_waitcnt lgkmcnt(0)
	v_fma_f64 v[70:71], v[91:92], v[85:86], v[70:71]
	v_mul_f64 v[91:92], v[89:90], v[14:15]
	v_mul_f64 v[97:98], v[83:84], v[60:61]
	;; [unrolled: 1-line block ×5, first 2 shown]
	v_fma_f64 v[70:71], v[81:82], v[87:88], v[70:71]
	ds_read2_b64 v[81:84], v99 offset0:12 offset1:13
	ds_read2_b64 v[85:88], v99 offset0:14 offset1:15
	v_mul_f64 v[91:92], v[91:92], v[40:41]
	v_mul_f64 v[89:90], v[89:90], v[48:49]
	s_waitcnt lgkmcnt(1)
	v_fma_f64 v[70:71], v[97:98], v[81:82], v[70:71]
	v_mul_f64 v[81:82], v[91:92], v[8:9]
	v_mul_f64 v[97:98], v[91:92], v[6:7]
	v_fma_f64 v[70:71], v[93:94], v[83:84], v[70:71]
	v_mul_f64 v[83:84], v[91:92], v[10:11]
	v_mul_f64 v[81:82], v[81:82], v[56:57]
	v_mul_f64 v[93:94], v[91:92], v[4:5]
	s_waitcnt lgkmcnt(0)
	v_fma_f64 v[70:71], v[95:96], v[85:86], v[70:71]
	v_mul_f64 v[95:96], v[83:84], v[58:59]
	v_mul_f64 v[93:94], v[93:94], v[60:61]
	v_fma_f64 v[70:71], v[81:82], v[87:88], v[70:71]
	ds_read2_b64 v[81:84], v99 offset0:16 offset1:17
	ds_read2_b64 v[85:88], v99 offset0:18 offset1:19
	s_waitcnt lgkmcnt(1)
	v_fma_f64 v[70:71], v[95:96], v[81:82], v[70:71]
	v_mul_f64 v[81:82], v[91:92], v[64:65]
	v_mul_f64 v[91:92], v[97:98], v[62:63]
	;; [unrolled: 1-line block ×3, first 2 shown]
	v_fma_f64 v[70:71], v[93:94], v[83:84], v[70:71]
	v_mul_f64 v[83:84], v[89:90], v[8:9]
	v_mul_f64 v[81:82], v[81:82], v[68:69]
	s_waitcnt lgkmcnt(0)
	v_fma_f64 v[70:71], v[91:92], v[85:86], v[70:71]
	v_mul_f64 v[91:92], v[89:90], v[10:11]
	v_mul_f64 v[93:94], v[83:84], v[56:57]
	v_fma_f64 v[70:71], v[81:82], v[87:88], v[70:71]
	ds_read2_b64 v[81:84], v99 offset0:20 offset1:21
	ds_read2_b64 v[85:88], v99 offset0:22 offset1:23
	v_mul_f64 v[91:92], v[91:92], v[58:59]
	s_waitcnt lgkmcnt(1)
	v_fma_f64 v[70:71], v[93:94], v[81:82], v[70:71]
	v_mul_f64 v[81:82], v[89:90], v[6:7]
	v_mul_f64 v[93:94], v[95:96], v[60:61]
	v_fma_f64 v[70:71], v[91:92], v[83:84], v[70:71]
	v_mul_f64 v[83:84], v[89:90], v[64:65]
	v_mul_f64 v[81:82], v[81:82], v[62:63]
	s_waitcnt lgkmcnt(0)
	v_fma_f64 v[70:71], v[93:94], v[85:86], v[70:71]
	v_mul_f64 v[83:84], v[83:84], v[68:69]
	v_fma_f64 v[70:71], v[81:82], v[87:88], v[70:71]
	ds_read_b64 v[81:82], v99 offset:192
	s_waitcnt lgkmcnt(0)
	v_fma_f64 v[70:71], v[83:84], v[81:82], v[70:71]
	s_cbranch_scc1 .LBB0_18
; %bb.19:                               ;   in Loop: Header=BB0_17 Depth=2
	s_lshl_b64 s[8:9], s[6:7], 13
	s_add_u32 s6, s6, 1
	v_mov_b32_e32 v57, s9
	v_add_co_u32_e32 v56, vcc, s8, v78
	s_addc_u32 s7, s7, 0
	v_addc_co_u32_e32 v57, vcc, v79, v57, vcc
	s_cmp_eq_u64 s[6:7], 4
	global_store_dwordx2 v[56:57], v[70:71], off
	s_cbranch_scc0 .LBB0_17
; %bb.20:                               ;   in Loop: Header=BB0_16 Depth=1
	s_mov_b64 s[6:7], 0
.LBB0_21:                               ;   Parent Loop BB0_16 Depth=1
                                        ; =>  This Loop Header: Depth=2
                                        ;       Child Loop BB0_22 Depth 3
	s_lshl_b32 s8, s6, 3
	v_mov_b32_e32 v68, s8
	ds_read2_b64 v[56:59], v68 offset0:126 offset1:130
	ds_read2_b64 v[60:63], v68 offset0:134 offset1:138
	ds_read_b64 v[68:69], v68 offset:1136
	v_mov_b32_e32 v70, 0
	v_mov_b32_e32 v71, 0
	s_mov_b64 s[8:9], 5
	s_mov_b32 s11, 0
	s_mov_b32 s12, 0
.LBB0_22:                               ;   Parent Loop BB0_16 Depth=1
                                        ;     Parent Loop BB0_21 Depth=2
                                        ; =>    This Inner Loop Header: Depth=3
	s_add_i32 s13, s10, s11
	v_add_u32_e32 v80, s11, v75
	v_mov_b32_e32 v82, s13
	ds_read_b64 v[80:81], v80
	ds_read_b64 v[82:83], v82
	v_mov_b32_e32 v98, s12
	s_add_u32 s8, s8, -1
	s_addc_u32 s9, s9, -1
	s_addk_i32 s12, 0xc8
	s_waitcnt lgkmcnt(0)
	v_mul_f64 v[88:89], v[80:81], v[82:83]
	s_add_i32 s11, s11, 32
	s_cmp_lg_u64 s[8:9], 0
	v_mul_f64 v[80:81], v[88:89], v[0:1]
	v_mul_f64 v[90:91], v[80:81], v[18:19]
	;; [unrolled: 1-line block ×6, first 2 shown]
	ds_read2_b64 v[80:83], v98 offset1:1
	ds_read2_b64 v[84:87], v98 offset0:2 offset1:3
	v_mul_f64 v[92:93], v[92:93], v[58:59]
	v_mul_f64 v[96:97], v[96:97], v[60:61]
	s_waitcnt lgkmcnt(1)
	v_fma_f64 v[70:71], v[94:95], v[80:81], v[70:71]
	v_mul_f64 v[80:81], v[88:89], v[2:3]
	v_mul_f64 v[94:95], v[90:91], v[6:7]
	v_fma_f64 v[70:71], v[92:93], v[82:83], v[70:71]
	v_mul_f64 v[92:93], v[80:81], v[26:27]
	v_mul_f64 v[80:81], v[90:91], v[64:65]
	;; [unrolled: 1-line block ×3, first 2 shown]
	s_waitcnt lgkmcnt(0)
	v_fma_f64 v[70:71], v[96:97], v[84:85], v[70:71]
	v_mul_f64 v[90:91], v[92:93], v[8:9]
	v_mul_f64 v[94:95], v[80:81], v[68:69]
	;; [unrolled: 1-line block ×3, first 2 shown]
	v_fma_f64 v[70:71], v[82:83], v[86:87], v[70:71]
	ds_read2_b64 v[80:83], v98 offset0:4 offset1:5
	ds_read2_b64 v[84:87], v98 offset0:6 offset1:7
	v_mul_f64 v[90:91], v[90:91], v[56:57]
	s_waitcnt lgkmcnt(1)
	v_fma_f64 v[70:71], v[94:95], v[80:81], v[70:71]
	v_mul_f64 v[80:81], v[92:93], v[4:5]
	v_mul_f64 v[94:95], v[96:97], v[58:59]
	v_fma_f64 v[70:71], v[90:91], v[82:83], v[70:71]
	v_mul_f64 v[82:83], v[88:89], v[12:13]
	v_mul_f64 v[90:91], v[92:93], v[6:7]
	;; [unrolled: 1-line block ×4, first 2 shown]
	s_waitcnt lgkmcnt(0)
	v_fma_f64 v[70:71], v[94:95], v[84:85], v[70:71]
	v_mul_f64 v[94:95], v[82:83], v[34:35]
	v_mul_f64 v[90:91], v[90:91], v[62:63]
	;; [unrolled: 1-line block ×3, first 2 shown]
	v_fma_f64 v[70:71], v[80:81], v[86:87], v[70:71]
	ds_read2_b64 v[80:83], v98 offset0:8 offset1:9
	ds_read2_b64 v[84:87], v98 offset0:10 offset1:11
	v_mul_f64 v[96:97], v[94:95], v[8:9]
	s_waitcnt lgkmcnt(1)
	v_fma_f64 v[70:71], v[90:91], v[80:81], v[70:71]
	v_mul_f64 v[80:81], v[94:95], v[10:11]
	v_mul_f64 v[90:91], v[96:97], v[56:57]
	v_fma_f64 v[70:71], v[92:93], v[82:83], v[70:71]
	v_mul_f64 v[82:83], v[94:95], v[4:5]
	v_mul_f64 v[80:81], v[80:81], v[58:59]
	;; [unrolled: 1-line block ×4, first 2 shown]
	s_waitcnt lgkmcnt(0)
	v_fma_f64 v[70:71], v[90:91], v[84:85], v[70:71]
	v_mul_f64 v[90:91], v[88:89], v[14:15]
	v_mul_f64 v[96:97], v[82:83], v[60:61]
	;; [unrolled: 1-line block ×5, first 2 shown]
	v_fma_f64 v[70:71], v[80:81], v[86:87], v[70:71]
	ds_read2_b64 v[80:83], v98 offset0:12 offset1:13
	ds_read2_b64 v[84:87], v98 offset0:14 offset1:15
	v_mul_f64 v[90:91], v[90:91], v[42:43]
	v_mul_f64 v[88:89], v[88:89], v[50:51]
	s_waitcnt lgkmcnt(1)
	v_fma_f64 v[70:71], v[96:97], v[80:81], v[70:71]
	v_mul_f64 v[80:81], v[90:91], v[8:9]
	v_mul_f64 v[96:97], v[90:91], v[6:7]
	v_fma_f64 v[70:71], v[92:93], v[82:83], v[70:71]
	v_mul_f64 v[82:83], v[90:91], v[10:11]
	v_mul_f64 v[80:81], v[80:81], v[56:57]
	;; [unrolled: 1-line block ×3, first 2 shown]
	s_waitcnt lgkmcnt(0)
	v_fma_f64 v[70:71], v[94:95], v[84:85], v[70:71]
	v_mul_f64 v[94:95], v[82:83], v[58:59]
	v_mul_f64 v[92:93], v[92:93], v[60:61]
	v_fma_f64 v[70:71], v[80:81], v[86:87], v[70:71]
	ds_read2_b64 v[80:83], v98 offset0:16 offset1:17
	ds_read2_b64 v[84:87], v98 offset0:18 offset1:19
	s_waitcnt lgkmcnt(1)
	v_fma_f64 v[70:71], v[94:95], v[80:81], v[70:71]
	v_mul_f64 v[80:81], v[90:91], v[64:65]
	v_mul_f64 v[90:91], v[96:97], v[62:63]
	;; [unrolled: 1-line block ×3, first 2 shown]
	v_fma_f64 v[70:71], v[92:93], v[82:83], v[70:71]
	v_mul_f64 v[82:83], v[88:89], v[8:9]
	v_mul_f64 v[80:81], v[80:81], v[68:69]
	s_waitcnt lgkmcnt(0)
	v_fma_f64 v[70:71], v[90:91], v[84:85], v[70:71]
	v_mul_f64 v[90:91], v[88:89], v[10:11]
	v_mul_f64 v[92:93], v[82:83], v[56:57]
	v_fma_f64 v[70:71], v[80:81], v[86:87], v[70:71]
	ds_read2_b64 v[80:83], v98 offset0:20 offset1:21
	ds_read2_b64 v[84:87], v98 offset0:22 offset1:23
	v_mul_f64 v[90:91], v[90:91], v[58:59]
	s_waitcnt lgkmcnt(1)
	v_fma_f64 v[70:71], v[92:93], v[80:81], v[70:71]
	v_mul_f64 v[80:81], v[88:89], v[6:7]
	v_mul_f64 v[92:93], v[94:95], v[60:61]
	v_fma_f64 v[70:71], v[90:91], v[82:83], v[70:71]
	v_mul_f64 v[82:83], v[88:89], v[64:65]
	v_mul_f64 v[80:81], v[80:81], v[62:63]
	s_waitcnt lgkmcnt(0)
	v_fma_f64 v[70:71], v[92:93], v[84:85], v[70:71]
	v_mul_f64 v[82:83], v[82:83], v[68:69]
	v_fma_f64 v[70:71], v[80:81], v[86:87], v[70:71]
	ds_read_b64 v[80:81], v98 offset:192
	s_waitcnt lgkmcnt(0)
	v_fma_f64 v[70:71], v[82:83], v[80:81], v[70:71]
	s_cbranch_scc1 .LBB0_22
; %bb.23:                               ;   in Loop: Header=BB0_21 Depth=2
	s_lshl_b64 s[8:9], s[6:7], 13
	s_add_u32 s6, s6, 1
	v_mov_b32_e32 v57, s9
	v_add_co_u32_e32 v56, vcc, s8, v78
	s_addc_u32 s7, s7, 0
	v_addc_co_u32_e32 v57, vcc, v79, v57, vcc
	s_cmp_lg_u64 s[6:7], 4
	global_store_dwordx2 v[56:57], v[70:71], off offset:2048
	s_cbranch_scc1 .LBB0_21
; %bb.24:                               ;   in Loop: Header=BB0_16 Depth=1
	s_mov_b64 s[6:7], 0
.LBB0_25:                               ;   Parent Loop BB0_16 Depth=1
                                        ; =>  This Loop Header: Depth=2
                                        ;       Child Loop BB0_26 Depth 3
	s_lshl_b32 s8, s6, 3
	v_mov_b32_e32 v68, s8
	ds_read2_b64 v[56:59], v68 offset0:126 offset1:130
	ds_read2_b64 v[60:63], v68 offset0:134 offset1:138
	ds_read_b64 v[68:69], v68 offset:1136
	v_mov_b32_e32 v70, 0
	v_mov_b32_e32 v71, 0
	s_mov_b64 s[8:9], 5
	s_mov_b32 s11, 0
	s_mov_b32 s12, 0
.LBB0_26:                               ;   Parent Loop BB0_16 Depth=1
                                        ;     Parent Loop BB0_25 Depth=2
                                        ; =>    This Inner Loop Header: Depth=3
	s_add_i32 s13, s10, s11
	v_add_u32_e32 v78, s11, v75
	v_mov_b32_e32 v80, s13
	ds_read_b64 v[78:79], v78
	ds_read_b64 v[80:81], v80
	v_mov_b32_e32 v96, s12
	s_add_u32 s8, s8, -1
	s_addc_u32 s9, s9, -1
	s_addk_i32 s12, 0xc8
	s_waitcnt lgkmcnt(0)
	v_mul_f64 v[86:87], v[78:79], v[80:81]
	s_add_i32 s11, s11, 32
	s_cmp_lg_u64 s[8:9], 0
	v_mul_f64 v[78:79], v[86:87], v[0:1]
	v_mul_f64 v[88:89], v[78:79], v[20:21]
	;; [unrolled: 1-line block ×6, first 2 shown]
	ds_read2_b64 v[78:81], v96 offset1:1
	ds_read2_b64 v[82:85], v96 offset0:2 offset1:3
	v_mul_f64 v[90:91], v[90:91], v[58:59]
	v_mul_f64 v[94:95], v[94:95], v[60:61]
	s_waitcnt lgkmcnt(1)
	v_fma_f64 v[70:71], v[92:93], v[78:79], v[70:71]
	v_mul_f64 v[78:79], v[86:87], v[2:3]
	v_mul_f64 v[92:93], v[88:89], v[6:7]
	v_fma_f64 v[70:71], v[90:91], v[80:81], v[70:71]
	v_mul_f64 v[90:91], v[78:79], v[28:29]
	v_mul_f64 v[78:79], v[88:89], v[64:65]
	;; [unrolled: 1-line block ×3, first 2 shown]
	s_waitcnt lgkmcnt(0)
	v_fma_f64 v[70:71], v[94:95], v[82:83], v[70:71]
	v_mul_f64 v[88:89], v[90:91], v[8:9]
	v_mul_f64 v[92:93], v[78:79], v[68:69]
	;; [unrolled: 1-line block ×3, first 2 shown]
	v_fma_f64 v[70:71], v[80:81], v[84:85], v[70:71]
	ds_read2_b64 v[78:81], v96 offset0:4 offset1:5
	ds_read2_b64 v[82:85], v96 offset0:6 offset1:7
	v_mul_f64 v[88:89], v[88:89], v[56:57]
	s_waitcnt lgkmcnt(1)
	v_fma_f64 v[70:71], v[92:93], v[78:79], v[70:71]
	v_mul_f64 v[78:79], v[90:91], v[4:5]
	v_mul_f64 v[92:93], v[94:95], v[58:59]
	v_fma_f64 v[70:71], v[88:89], v[80:81], v[70:71]
	v_mul_f64 v[80:81], v[86:87], v[12:13]
	v_mul_f64 v[88:89], v[90:91], v[6:7]
	;; [unrolled: 1-line block ×4, first 2 shown]
	s_waitcnt lgkmcnt(0)
	v_fma_f64 v[70:71], v[92:93], v[82:83], v[70:71]
	v_mul_f64 v[92:93], v[80:81], v[36:37]
	v_mul_f64 v[88:89], v[88:89], v[62:63]
	;; [unrolled: 1-line block ×3, first 2 shown]
	v_fma_f64 v[70:71], v[78:79], v[84:85], v[70:71]
	ds_read2_b64 v[78:81], v96 offset0:8 offset1:9
	ds_read2_b64 v[82:85], v96 offset0:10 offset1:11
	v_mul_f64 v[94:95], v[92:93], v[8:9]
	s_waitcnt lgkmcnt(1)
	v_fma_f64 v[70:71], v[88:89], v[78:79], v[70:71]
	v_mul_f64 v[78:79], v[92:93], v[10:11]
	v_mul_f64 v[88:89], v[94:95], v[56:57]
	v_fma_f64 v[70:71], v[90:91], v[80:81], v[70:71]
	v_mul_f64 v[80:81], v[92:93], v[4:5]
	v_mul_f64 v[78:79], v[78:79], v[58:59]
	;; [unrolled: 1-line block ×4, first 2 shown]
	s_waitcnt lgkmcnt(0)
	v_fma_f64 v[70:71], v[88:89], v[82:83], v[70:71]
	v_mul_f64 v[88:89], v[86:87], v[14:15]
	v_mul_f64 v[94:95], v[80:81], v[60:61]
	v_mul_f64 v[90:91], v[90:91], v[62:63]
	v_mul_f64 v[92:93], v[92:93], v[68:69]
	v_mul_f64 v[86:87], v[86:87], v[66:67]
	v_fma_f64 v[70:71], v[78:79], v[84:85], v[70:71]
	ds_read2_b64 v[78:81], v96 offset0:12 offset1:13
	ds_read2_b64 v[82:85], v96 offset0:14 offset1:15
	v_mul_f64 v[88:89], v[88:89], v[44:45]
	v_mul_f64 v[86:87], v[86:87], v[52:53]
	s_waitcnt lgkmcnt(1)
	v_fma_f64 v[70:71], v[94:95], v[78:79], v[70:71]
	v_mul_f64 v[78:79], v[88:89], v[8:9]
	v_mul_f64 v[94:95], v[88:89], v[6:7]
	v_fma_f64 v[70:71], v[90:91], v[80:81], v[70:71]
	v_mul_f64 v[80:81], v[88:89], v[10:11]
	v_mul_f64 v[78:79], v[78:79], v[56:57]
	;; [unrolled: 1-line block ×3, first 2 shown]
	s_waitcnt lgkmcnt(0)
	v_fma_f64 v[70:71], v[92:93], v[82:83], v[70:71]
	v_mul_f64 v[92:93], v[80:81], v[58:59]
	v_mul_f64 v[90:91], v[90:91], v[60:61]
	v_fma_f64 v[70:71], v[78:79], v[84:85], v[70:71]
	ds_read2_b64 v[78:81], v96 offset0:16 offset1:17
	ds_read2_b64 v[82:85], v96 offset0:18 offset1:19
	s_waitcnt lgkmcnt(1)
	v_fma_f64 v[70:71], v[92:93], v[78:79], v[70:71]
	v_mul_f64 v[78:79], v[88:89], v[64:65]
	v_mul_f64 v[88:89], v[94:95], v[62:63]
	;; [unrolled: 1-line block ×3, first 2 shown]
	v_fma_f64 v[70:71], v[90:91], v[80:81], v[70:71]
	v_mul_f64 v[80:81], v[86:87], v[8:9]
	v_mul_f64 v[78:79], v[78:79], v[68:69]
	s_waitcnt lgkmcnt(0)
	v_fma_f64 v[70:71], v[88:89], v[82:83], v[70:71]
	v_mul_f64 v[88:89], v[86:87], v[10:11]
	v_mul_f64 v[90:91], v[80:81], v[56:57]
	v_fma_f64 v[70:71], v[78:79], v[84:85], v[70:71]
	ds_read2_b64 v[78:81], v96 offset0:20 offset1:21
	ds_read2_b64 v[82:85], v96 offset0:22 offset1:23
	v_mul_f64 v[88:89], v[88:89], v[58:59]
	s_waitcnt lgkmcnt(1)
	v_fma_f64 v[70:71], v[90:91], v[78:79], v[70:71]
	v_mul_f64 v[78:79], v[86:87], v[6:7]
	v_mul_f64 v[90:91], v[92:93], v[60:61]
	v_fma_f64 v[70:71], v[88:89], v[80:81], v[70:71]
	v_mul_f64 v[80:81], v[86:87], v[64:65]
	v_mul_f64 v[78:79], v[78:79], v[62:63]
	s_waitcnt lgkmcnt(0)
	v_fma_f64 v[70:71], v[90:91], v[82:83], v[70:71]
	v_mul_f64 v[80:81], v[80:81], v[68:69]
	v_fma_f64 v[70:71], v[78:79], v[84:85], v[70:71]
	ds_read_b64 v[78:79], v96 offset:192
	s_waitcnt lgkmcnt(0)
	v_fma_f64 v[70:71], v[80:81], v[78:79], v[70:71]
	s_cbranch_scc1 .LBB0_26
; %bb.27:                               ;   in Loop: Header=BB0_25 Depth=2
	s_lshl_b64 s[8:9], s[6:7], 13
	v_mov_b32_e32 v56, s9
	v_add_co_u32_e32 v57, vcc, s8, v72
	v_addc_co_u32_e32 v56, vcc, v73, v56, vcc
	v_mov_b32_e32 v58, s1
	v_add_co_u32_e32 v57, vcc, s0, v57
	v_addc_co_u32_e32 v56, vcc, v56, v58, vcc
	;; [unrolled: 3-line block ×3, first 2 shown]
	v_add_co_u32_e32 v57, vcc, v57, v74
	v_addc_co_u32_e32 v58, vcc, 0, v56, vcc
	s_add_u32 s6, s6, 1
	v_add_co_u32_e32 v56, vcc, 0x1000, v57
	s_addc_u32 s7, s7, 0
	v_addc_co_u32_e32 v57, vcc, 0, v58, vcc
	s_cmp_lg_u64 s[6:7], 4
	global_store_dwordx2 v[56:57], v[70:71], off
	s_cbranch_scc1 .LBB0_25
; %bb.28:                               ;   in Loop: Header=BB0_16 Depth=1
	s_mov_b64 s[6:7], 0
.LBB0_29:                               ;   Parent Loop BB0_16 Depth=1
                                        ; =>  This Loop Header: Depth=2
                                        ;       Child Loop BB0_30 Depth 3
	s_lshl_b32 s8, s6, 3
	v_mov_b32_e32 v68, s8
	ds_read2_b64 v[56:59], v68 offset0:126 offset1:130
	ds_read2_b64 v[60:63], v68 offset0:134 offset1:138
	ds_read_b64 v[68:69], v68 offset:1136
	v_mov_b32_e32 v70, 0
	v_mov_b32_e32 v71, 0
	s_mov_b64 s[8:9], 5
	s_mov_b32 s11, 0
	s_mov_b32 s12, 0
.LBB0_30:                               ;   Parent Loop BB0_16 Depth=1
                                        ;     Parent Loop BB0_29 Depth=2
                                        ; =>    This Inner Loop Header: Depth=3
	s_add_i32 s13, s10, s11
	v_add_u32_e32 v78, s11, v75
	v_mov_b32_e32 v80, s13
	ds_read_b64 v[78:79], v78
	ds_read_b64 v[80:81], v80
	v_mov_b32_e32 v96, s12
	s_add_u32 s8, s8, -1
	s_addc_u32 s9, s9, -1
	s_addk_i32 s12, 0xc8
	s_waitcnt lgkmcnt(0)
	v_mul_f64 v[86:87], v[78:79], v[80:81]
	s_add_i32 s11, s11, 32
	s_cmp_lg_u64 s[8:9], 0
	v_mul_f64 v[78:79], v[86:87], v[0:1]
	v_mul_f64 v[88:89], v[78:79], v[22:23]
	v_mul_f64 v[78:79], v[88:89], v[8:9]
	v_mul_f64 v[90:91], v[88:89], v[10:11]
	v_mul_f64 v[94:95], v[88:89], v[4:5]
	v_mul_f64 v[92:93], v[78:79], v[56:57]
	ds_read2_b64 v[78:81], v96 offset1:1
	ds_read2_b64 v[82:85], v96 offset0:2 offset1:3
	v_mul_f64 v[90:91], v[90:91], v[58:59]
	v_mul_f64 v[94:95], v[94:95], v[60:61]
	s_waitcnt lgkmcnt(1)
	v_fma_f64 v[70:71], v[92:93], v[78:79], v[70:71]
	v_mul_f64 v[78:79], v[86:87], v[2:3]
	v_mul_f64 v[92:93], v[88:89], v[6:7]
	v_fma_f64 v[70:71], v[90:91], v[80:81], v[70:71]
	v_mul_f64 v[90:91], v[78:79], v[30:31]
	v_mul_f64 v[78:79], v[88:89], v[64:65]
	;; [unrolled: 1-line block ×3, first 2 shown]
	s_waitcnt lgkmcnt(0)
	v_fma_f64 v[70:71], v[94:95], v[82:83], v[70:71]
	v_mul_f64 v[88:89], v[90:91], v[8:9]
	v_mul_f64 v[92:93], v[78:79], v[68:69]
	;; [unrolled: 1-line block ×3, first 2 shown]
	v_fma_f64 v[70:71], v[80:81], v[84:85], v[70:71]
	ds_read2_b64 v[78:81], v96 offset0:4 offset1:5
	ds_read2_b64 v[82:85], v96 offset0:6 offset1:7
	v_mul_f64 v[88:89], v[88:89], v[56:57]
	s_waitcnt lgkmcnt(1)
	v_fma_f64 v[70:71], v[92:93], v[78:79], v[70:71]
	v_mul_f64 v[78:79], v[90:91], v[4:5]
	v_mul_f64 v[92:93], v[94:95], v[58:59]
	v_fma_f64 v[70:71], v[88:89], v[80:81], v[70:71]
	v_mul_f64 v[80:81], v[86:87], v[12:13]
	v_mul_f64 v[88:89], v[90:91], v[6:7]
	;; [unrolled: 1-line block ×4, first 2 shown]
	s_waitcnt lgkmcnt(0)
	v_fma_f64 v[70:71], v[92:93], v[82:83], v[70:71]
	v_mul_f64 v[92:93], v[80:81], v[38:39]
	v_mul_f64 v[88:89], v[88:89], v[62:63]
	;; [unrolled: 1-line block ×3, first 2 shown]
	v_fma_f64 v[70:71], v[78:79], v[84:85], v[70:71]
	ds_read2_b64 v[78:81], v96 offset0:8 offset1:9
	ds_read2_b64 v[82:85], v96 offset0:10 offset1:11
	v_mul_f64 v[94:95], v[92:93], v[8:9]
	s_waitcnt lgkmcnt(1)
	v_fma_f64 v[70:71], v[88:89], v[78:79], v[70:71]
	v_mul_f64 v[78:79], v[92:93], v[10:11]
	v_mul_f64 v[88:89], v[94:95], v[56:57]
	v_fma_f64 v[70:71], v[90:91], v[80:81], v[70:71]
	v_mul_f64 v[80:81], v[92:93], v[4:5]
	v_mul_f64 v[78:79], v[78:79], v[58:59]
	;; [unrolled: 1-line block ×4, first 2 shown]
	s_waitcnt lgkmcnt(0)
	v_fma_f64 v[70:71], v[88:89], v[82:83], v[70:71]
	v_mul_f64 v[88:89], v[86:87], v[14:15]
	v_mul_f64 v[94:95], v[80:81], v[60:61]
	;; [unrolled: 1-line block ×5, first 2 shown]
	v_fma_f64 v[70:71], v[78:79], v[84:85], v[70:71]
	ds_read2_b64 v[78:81], v96 offset0:12 offset1:13
	ds_read2_b64 v[82:85], v96 offset0:14 offset1:15
	v_mul_f64 v[88:89], v[88:89], v[46:47]
	v_mul_f64 v[86:87], v[86:87], v[54:55]
	s_waitcnt lgkmcnt(1)
	v_fma_f64 v[70:71], v[94:95], v[78:79], v[70:71]
	v_mul_f64 v[78:79], v[88:89], v[8:9]
	v_mul_f64 v[94:95], v[88:89], v[6:7]
	v_fma_f64 v[70:71], v[90:91], v[80:81], v[70:71]
	v_mul_f64 v[80:81], v[88:89], v[10:11]
	v_mul_f64 v[78:79], v[78:79], v[56:57]
	;; [unrolled: 1-line block ×3, first 2 shown]
	s_waitcnt lgkmcnt(0)
	v_fma_f64 v[70:71], v[92:93], v[82:83], v[70:71]
	v_mul_f64 v[92:93], v[80:81], v[58:59]
	v_mul_f64 v[90:91], v[90:91], v[60:61]
	v_fma_f64 v[70:71], v[78:79], v[84:85], v[70:71]
	ds_read2_b64 v[78:81], v96 offset0:16 offset1:17
	ds_read2_b64 v[82:85], v96 offset0:18 offset1:19
	s_waitcnt lgkmcnt(1)
	v_fma_f64 v[70:71], v[92:93], v[78:79], v[70:71]
	v_mul_f64 v[78:79], v[88:89], v[64:65]
	v_mul_f64 v[88:89], v[94:95], v[62:63]
	;; [unrolled: 1-line block ×3, first 2 shown]
	v_fma_f64 v[70:71], v[90:91], v[80:81], v[70:71]
	v_mul_f64 v[80:81], v[86:87], v[8:9]
	v_mul_f64 v[78:79], v[78:79], v[68:69]
	s_waitcnt lgkmcnt(0)
	v_fma_f64 v[70:71], v[88:89], v[82:83], v[70:71]
	v_mul_f64 v[88:89], v[86:87], v[10:11]
	v_mul_f64 v[90:91], v[80:81], v[56:57]
	v_fma_f64 v[70:71], v[78:79], v[84:85], v[70:71]
	ds_read2_b64 v[78:81], v96 offset0:20 offset1:21
	ds_read2_b64 v[82:85], v96 offset0:22 offset1:23
	v_mul_f64 v[88:89], v[88:89], v[58:59]
	s_waitcnt lgkmcnt(1)
	v_fma_f64 v[70:71], v[90:91], v[78:79], v[70:71]
	v_mul_f64 v[78:79], v[86:87], v[6:7]
	v_mul_f64 v[90:91], v[92:93], v[60:61]
	v_fma_f64 v[70:71], v[88:89], v[80:81], v[70:71]
	v_mul_f64 v[80:81], v[86:87], v[64:65]
	v_mul_f64 v[78:79], v[78:79], v[62:63]
	s_waitcnt lgkmcnt(0)
	v_fma_f64 v[70:71], v[90:91], v[82:83], v[70:71]
	v_mul_f64 v[80:81], v[80:81], v[68:69]
	v_fma_f64 v[70:71], v[78:79], v[84:85], v[70:71]
	ds_read_b64 v[78:79], v96 offset:192
	s_waitcnt lgkmcnt(0)
	v_fma_f64 v[70:71], v[80:81], v[78:79], v[70:71]
	s_cbranch_scc1 .LBB0_30
; %bb.31:                               ;   in Loop: Header=BB0_29 Depth=2
	s_lshl_b64 s[8:9], s[6:7], 13
	v_mov_b32_e32 v56, s9
	v_add_co_u32_e32 v57, vcc, s8, v72
	v_addc_co_u32_e32 v56, vcc, v73, v56, vcc
	v_mov_b32_e32 v58, s1
	v_add_co_u32_e32 v57, vcc, s0, v57
	v_addc_co_u32_e32 v56, vcc, v56, v58, vcc
	;; [unrolled: 3-line block ×3, first 2 shown]
	v_add_co_u32_e32 v57, vcc, v57, v74
	v_addc_co_u32_e32 v58, vcc, 0, v56, vcc
	s_add_u32 s6, s6, 1
	v_add_co_u32_e32 v56, vcc, 0x1000, v57
	s_addc_u32 s7, s7, 0
	v_addc_co_u32_e32 v57, vcc, 0, v58, vcc
	s_cmp_lg_u64 s[6:7], 4
	global_store_dwordx2 v[56:57], v[70:71], off offset:2048
	s_cbranch_scc1 .LBB0_29
; %bb.32:                               ;   in Loop: Header=BB0_16 Depth=1
	s_add_u32 s2, s2, 1
	s_addc_u32 s3, s3, 0
	s_add_i32 s10, s10, 8
	s_cmp_eq_u64 s[2:3], 4
	s_cbranch_scc0 .LBB0_16
.LBB0_33:
	s_endpgm
	.section	.rodata,"a",@progbits
	.p2align	6, 0x0
	.amdhsa_kernel _ZN8rajaperf4apps8Mass3DEAILm64EEEvPdS2_S2_
		.amdhsa_group_segment_fixed_size 1168
		.amdhsa_private_segment_fixed_size 0
		.amdhsa_kernarg_size 24
		.amdhsa_user_sgpr_count 6
		.amdhsa_user_sgpr_private_segment_buffer 1
		.amdhsa_user_sgpr_dispatch_ptr 0
		.amdhsa_user_sgpr_queue_ptr 0
		.amdhsa_user_sgpr_kernarg_segment_ptr 1
		.amdhsa_user_sgpr_dispatch_id 0
		.amdhsa_user_sgpr_flat_scratch_init 0
		.amdhsa_user_sgpr_private_segment_size 0
		.amdhsa_uses_dynamic_stack 0
		.amdhsa_system_sgpr_private_segment_wavefront_offset 0
		.amdhsa_system_sgpr_workgroup_id_x 1
		.amdhsa_system_sgpr_workgroup_id_y 0
		.amdhsa_system_sgpr_workgroup_id_z 0
		.amdhsa_system_sgpr_workgroup_info 0
		.amdhsa_system_vgpr_workitem_id 2
		.amdhsa_next_free_vgpr 100
		.amdhsa_next_free_sgpr 23
		.amdhsa_reserve_vcc 1
		.amdhsa_reserve_flat_scratch 0
		.amdhsa_float_round_mode_32 0
		.amdhsa_float_round_mode_16_64 0
		.amdhsa_float_denorm_mode_32 3
		.amdhsa_float_denorm_mode_16_64 3
		.amdhsa_dx10_clamp 1
		.amdhsa_ieee_mode 1
		.amdhsa_fp16_overflow 0
		.amdhsa_exception_fp_ieee_invalid_op 0
		.amdhsa_exception_fp_denorm_src 0
		.amdhsa_exception_fp_ieee_div_zero 0
		.amdhsa_exception_fp_ieee_overflow 0
		.amdhsa_exception_fp_ieee_underflow 0
		.amdhsa_exception_fp_ieee_inexact 0
		.amdhsa_exception_int_div_zero 0
	.end_amdhsa_kernel
	.section	.text._ZN8rajaperf4apps8Mass3DEAILm64EEEvPdS2_S2_,"axG",@progbits,_ZN8rajaperf4apps8Mass3DEAILm64EEEvPdS2_S2_,comdat
.Lfunc_end0:
	.size	_ZN8rajaperf4apps8Mass3DEAILm64EEEvPdS2_S2_, .Lfunc_end0-_ZN8rajaperf4apps8Mass3DEAILm64EEEvPdS2_S2_
                                        ; -- End function
	.set _ZN8rajaperf4apps8Mass3DEAILm64EEEvPdS2_S2_.num_vgpr, 100
	.set _ZN8rajaperf4apps8Mass3DEAILm64EEEvPdS2_S2_.num_agpr, 0
	.set _ZN8rajaperf4apps8Mass3DEAILm64EEEvPdS2_S2_.numbered_sgpr, 23
	.set _ZN8rajaperf4apps8Mass3DEAILm64EEEvPdS2_S2_.num_named_barrier, 0
	.set _ZN8rajaperf4apps8Mass3DEAILm64EEEvPdS2_S2_.private_seg_size, 0
	.set _ZN8rajaperf4apps8Mass3DEAILm64EEEvPdS2_S2_.uses_vcc, 1
	.set _ZN8rajaperf4apps8Mass3DEAILm64EEEvPdS2_S2_.uses_flat_scratch, 0
	.set _ZN8rajaperf4apps8Mass3DEAILm64EEEvPdS2_S2_.has_dyn_sized_stack, 0
	.set _ZN8rajaperf4apps8Mass3DEAILm64EEEvPdS2_S2_.has_recursion, 0
	.set _ZN8rajaperf4apps8Mass3DEAILm64EEEvPdS2_S2_.has_indirect_call, 0
	.section	.AMDGPU.csdata,"",@progbits
; Kernel info:
; codeLenInByte = 4928
; TotalNumSgprs: 27
; NumVgprs: 100
; ScratchSize: 0
; MemoryBound: 0
; FloatMode: 240
; IeeeMode: 1
; LDSByteSize: 1168 bytes/workgroup (compile time only)
; SGPRBlocks: 3
; VGPRBlocks: 24
; NumSGPRsForWavesPerEU: 27
; NumVGPRsForWavesPerEU: 100
; Occupancy: 2
; WaveLimiterHint : 0
; COMPUTE_PGM_RSRC2:SCRATCH_EN: 0
; COMPUTE_PGM_RSRC2:USER_SGPR: 6
; COMPUTE_PGM_RSRC2:TRAP_HANDLER: 0
; COMPUTE_PGM_RSRC2:TGID_X_EN: 1
; COMPUTE_PGM_RSRC2:TGID_Y_EN: 0
; COMPUTE_PGM_RSRC2:TGID_Z_EN: 0
; COMPUTE_PGM_RSRC2:TIDIG_COMP_CNT: 2
	.section	.text._ZN4RAJA34launch_new_reduce_global_fcn_fixedIZN8rajaperf4apps8MASS3DEA17runHipVariantImplILm64ELm0EEEvNS1_9VariantIDEEUlNS_14LaunchContextTINS_3hip33LaunchContextIndicesAndDimsPolicyINS7_14IndicesAndDimsILb0ELb0ELb0ELb0EEEEEEEE_Li64ENS_4expt15ForallParamPackIJEEEEEvT_T1_,"axG",@progbits,_ZN4RAJA34launch_new_reduce_global_fcn_fixedIZN8rajaperf4apps8MASS3DEA17runHipVariantImplILm64ELm0EEEvNS1_9VariantIDEEUlNS_14LaunchContextTINS_3hip33LaunchContextIndicesAndDimsPolicyINS7_14IndicesAndDimsILb0ELb0ELb0ELb0EEEEEEEE_Li64ENS_4expt15ForallParamPackIJEEEEEvT_T1_,comdat
	.protected	_ZN4RAJA34launch_new_reduce_global_fcn_fixedIZN8rajaperf4apps8MASS3DEA17runHipVariantImplILm64ELm0EEEvNS1_9VariantIDEEUlNS_14LaunchContextTINS_3hip33LaunchContextIndicesAndDimsPolicyINS7_14IndicesAndDimsILb0ELb0ELb0ELb0EEEEEEEE_Li64ENS_4expt15ForallParamPackIJEEEEEvT_T1_ ; -- Begin function _ZN4RAJA34launch_new_reduce_global_fcn_fixedIZN8rajaperf4apps8MASS3DEA17runHipVariantImplILm64ELm0EEEvNS1_9VariantIDEEUlNS_14LaunchContextTINS_3hip33LaunchContextIndicesAndDimsPolicyINS7_14IndicesAndDimsILb0ELb0ELb0ELb0EEEEEEEE_Li64ENS_4expt15ForallParamPackIJEEEEEvT_T1_
	.globl	_ZN4RAJA34launch_new_reduce_global_fcn_fixedIZN8rajaperf4apps8MASS3DEA17runHipVariantImplILm64ELm0EEEvNS1_9VariantIDEEUlNS_14LaunchContextTINS_3hip33LaunchContextIndicesAndDimsPolicyINS7_14IndicesAndDimsILb0ELb0ELb0ELb0EEEEEEEE_Li64ENS_4expt15ForallParamPackIJEEEEEvT_T1_
	.p2align	8
	.type	_ZN4RAJA34launch_new_reduce_global_fcn_fixedIZN8rajaperf4apps8MASS3DEA17runHipVariantImplILm64ELm0EEEvNS1_9VariantIDEEUlNS_14LaunchContextTINS_3hip33LaunchContextIndicesAndDimsPolicyINS7_14IndicesAndDimsILb0ELb0ELb0ELb0EEEEEEEE_Li64ENS_4expt15ForallParamPackIJEEEEEvT_T1_,@function
_ZN4RAJA34launch_new_reduce_global_fcn_fixedIZN8rajaperf4apps8MASS3DEA17runHipVariantImplILm64ELm0EEEvNS1_9VariantIDEEUlNS_14LaunchContextTINS_3hip33LaunchContextIndicesAndDimsPolicyINS7_14IndicesAndDimsILb0ELb0ELb0ELb0EEEEEEEE_Li64ENS_4expt15ForallParamPackIJEEEEEvT_T1_: ; @_ZN4RAJA34launch_new_reduce_global_fcn_fixedIZN8rajaperf4apps8MASS3DEA17runHipVariantImplILm64ELm0EEEvNS1_9VariantIDEEUlNS_14LaunchContextTINS_3hip33LaunchContextIndicesAndDimsPolicyINS7_14IndicesAndDimsILb0ELb0ELb0ELb0EEEEEEEE_Li64ENS_4expt15ForallParamPackIJEEEEEvT_T1_
; %bb.0:
	s_load_dwordx8 s[8:15], s[4:5], 0x0
	s_mov_b64 s[26:27], s[2:3]
	s_mov_b64 s[24:25], s[0:1]
	s_add_u32 s24, s24, s7
	s_mov_b32 s7, 0
	v_mov_b32_e32 v3, s6
	v_mov_b32_e32 v4, s7
	s_waitcnt lgkmcnt(0)
	v_cmp_le_i64_e32 vcc, s[8:9], v[3:4]
	s_addc_u32 s25, s25, 0
	s_cbranch_vccnz .LBB1_25
; %bb.1:
	v_cmp_eq_u32_e32 vcc, 0, v2
	s_and_saveexec_b64 s[4:5], vcc
	s_cbranch_execz .LBB1_5
; %bb.2:
	v_cmp_gt_u32_e64 s[0:1], 4, v0
	v_cmp_gt_u32_e64 s[2:3], 5, v1
	s_and_b64 s[0:1], s[0:1], s[2:3]
	s_and_b64 exec, exec, s[0:1]
	s_cbranch_execz .LBB1_5
; %bb.3:
	v_mul_u32_u24_e32 v3, 40, v0
	v_mov_b32_e32 v5, v2
	v_mov_b32_e32 v2, 0
	;; [unrolled: 1-line block ×3, first 2 shown]
	v_add_co_u32_e64 v3, s[0:1], s10, v3
	v_lshlrev_b64 v[6:7], 3, v[1:2]
	v_addc_co_u32_e64 v4, s[0:1], 0, v4, s[0:1]
	v_mov_b32_e32 v2, v5
	v_add_co_u32_e64 v5, s[0:1], v3, v6
	v_addc_co_u32_e64 v6, s[0:1], v4, v7, s[0:1]
	global_load_dwordx2 v[6:7], v[5:6], off
	v_mov_b32_e32 v5, 0x3f0
	v_lshl_add_u32 v5, v0, 3, v5
	v_lshl_add_u32 v8, v1, 5, v5
	v_cmp_eq_u32_e64 s[0:1], 0, v1
	s_waitcnt vmcnt(0)
	ds_write_b64 v8, v[6:7]
	s_and_b64 exec, exec, s[0:1]
	s_cbranch_execz .LBB1_5
; %bb.4:
	global_load_dwordx2 v[3:4], v[3:4], off offset:32
	s_waitcnt vmcnt(0)
	ds_write_b64 v5, v[3:4] offset:128
.LBB1_5:
	s_or_b64 exec, exec, s[4:5]
	v_cmp_gt_u32_e64 s[0:1], 5, v0
	s_and_saveexec_b64 s[10:11], s[0:1]
	s_cbranch_execz .LBB1_20
; %bb.6:
	v_cmp_gt_u32_e64 s[0:1], 5, v2
	v_cmp_eq_u32_e64 s[8:9], 0, v1
	v_cmp_lt_u32_e64 s[2:3], 4, v1
	v_cmp_gt_u32_e64 s[4:5], 5, v1
	v_mul_u32_u24_e32 v5, 0xc8, v2
	v_mul_u32_u24_e32 v6, 40, v1
	s_and_b64 s[8:9], s[8:9], s[0:1]
	s_mul_hi_u32 s20, s6, 0x3e8
	s_mul_i32 s21, s6, 0x3e8
	s_and_saveexec_b64 s[16:17], s[4:5]
	s_cbranch_execz .LBB1_13
; %bb.7:
	v_mul_u32_u24_e32 v7, 0xc8, v0
	s_and_saveexec_b64 s[18:19], s[0:1]
	s_cbranch_execz .LBB1_10
; %bb.8:
	v_lshlrev_b32_e32 v3, 3, v0
	v_mov_b32_e32 v4, s13
	v_add_co_u32_e64 v3, s[4:5], s12, v3
	v_addc_co_u32_e64 v4, s[4:5], 0, v4, s[4:5]
	v_add_co_u32_e64 v3, s[4:5], v3, v6
	v_addc_co_u32_e64 v4, s[4:5], 0, v4, s[4:5]
	v_mov_b32_e32 v8, s20
	v_add_co_u32_e64 v3, s[4:5], s21, v3
	v_addc_co_u32_e64 v4, s[4:5], v4, v8, s[4:5]
	v_add_co_u32_e64 v8, s[4:5], v3, v5
	v_addc_co_u32_e64 v9, s[4:5], 0, v4, s[4:5]
	global_load_dwordx2 v[9:10], v[8:9], off
	v_mad_u32_u24 v8, v1, 40, v7
	v_lshl_add_u32 v11, v2, 3, v8
	s_waitcnt vmcnt(0)
	ds_write_b64 v11, v[9:10]
	s_and_b64 exec, exec, vcc
	s_cbranch_execz .LBB1_10
; %bb.9:
	global_load_dwordx2 v[3:4], v[3:4], off offset:800
	s_waitcnt vmcnt(0)
	ds_write_b64 v8, v[3:4] offset:32
.LBB1_10:
	s_or_b64 exec, exec, s[18:19]
	s_and_b64 exec, exec, s[8:9]
	s_cbranch_execz .LBB1_13
; %bb.11:
	v_lshlrev_b32_e32 v3, 3, v0
	v_mov_b32_e32 v4, s13
	v_add_co_u32_e64 v3, s[4:5], s12, v3
	v_addc_co_u32_e64 v4, s[4:5], 0, v4, s[4:5]
	v_mov_b32_e32 v8, s20
	v_add_co_u32_e64 v3, s[4:5], s21, v3
	v_addc_co_u32_e64 v4, s[4:5], v4, v8, s[4:5]
	v_add_co_u32_e64 v8, s[4:5], v3, v5
	v_addc_co_u32_e64 v9, s[4:5], 0, v4, s[4:5]
	global_load_dwordx2 v[8:9], v[8:9], off offset:160
	v_lshl_add_u32 v10, v2, 3, v7
	s_waitcnt vmcnt(0)
	ds_write_b64 v10, v[8:9] offset:160
	s_and_b64 exec, exec, vcc
	s_cbranch_execz .LBB1_13
; %bb.12:
	global_load_dwordx2 v[3:4], v[3:4], off offset:960
	s_waitcnt vmcnt(0)
	ds_write_b64 v7, v[3:4] offset:192
.LBB1_13:
	s_or_b64 exec, exec, s[16:17]
	v_cmp_eq_u32_e64 s[4:5], 0, v0
	s_xor_b64 s[2:3], s[2:3], -1
	s_and_b64 s[2:3], s[4:5], s[2:3]
	s_and_b64 exec, exec, s[2:3]
	s_cbranch_execz .LBB1_20
; %bb.14:
	s_and_saveexec_b64 s[2:3], s[0:1]
	s_cbranch_execz .LBB1_17
; %bb.15:
	v_mov_b32_e32 v3, s13
	v_add_co_u32_e64 v4, s[0:1], s12, v6
	v_addc_co_u32_e64 v7, s[0:1], 0, v3, s[0:1]
	v_mov_b32_e32 v8, s20
	v_add_co_u32_e64 v3, s[0:1], s21, v4
	v_addc_co_u32_e64 v4, s[0:1], v7, v8, s[0:1]
	v_add_co_u32_e64 v7, s[0:1], v3, v5
	v_addc_co_u32_e64 v8, s[0:1], 0, v4, s[0:1]
	global_load_dwordx2 v[7:8], v[7:8], off offset:32
	v_lshlrev_b32_e32 v9, 3, v2
	v_mad_u32_u24 v9, v1, 40, v9
	s_waitcnt vmcnt(0)
	ds_write_b64 v9, v[7:8] offset:800
	s_and_b64 exec, exec, vcc
	s_cbranch_execz .LBB1_17
; %bb.16:
	global_load_dwordx2 v[3:4], v[3:4], off offset:832
	s_waitcnt vmcnt(0)
	ds_write_b64 v6, v[3:4] offset:832
.LBB1_17:
	s_or_b64 exec, exec, s[2:3]
	s_and_b64 exec, exec, s[8:9]
	s_cbranch_execz .LBB1_20
; %bb.18:
	s_add_u32 s2, s12, s21
	s_addc_u32 s3, s13, s20
	v_mov_b32_e32 v4, s3
	v_add_co_u32_e64 v3, s[0:1], s2, v5
	v_addc_co_u32_e64 v4, s[0:1], 0, v4, s[0:1]
	global_load_dwordx2 v[3:4], v[3:4], off offset:192
	v_lshlrev_b32_e32 v5, 3, v2
	s_waitcnt vmcnt(0)
	ds_write_b64 v5, v[3:4] offset:960
	s_and_b64 exec, exec, vcc
	s_cbranch_execz .LBB1_20
; %bb.19:
	s_load_dwordx2 s[0:1], s[2:3], 0x3e0
	v_mov_b32_e32 v5, 0
	s_waitcnt lgkmcnt(0)
	v_mov_b32_e32 v4, s1
	v_mov_b32_e32 v3, s0
	ds_write_b64 v5, v[3:4] offset:992
.LBB1_20:
	s_or_b64 exec, exec, s[10:11]
	v_cmp_gt_u32_e32 vcc, 4, v0
	s_waitcnt lgkmcnt(0)
	; wave barrier
	s_and_saveexec_b64 s[0:1], vcc
	s_cbranch_execz .LBB1_25
; %bb.21:
	v_cmp_gt_u32_e32 vcc, 4, v1
	s_and_b64 exec, exec, vcc
	s_cbranch_execz .LBB1_25
; %bb.22:
	v_cmp_gt_u32_e32 vcc, 4, v2
	s_and_b64 exec, exec, vcc
	s_cbranch_execz .LBB1_25
; %bb.23:
	v_lshlrev_b32_e32 v3, 3, v2
	v_add_u32_e32 v4, 0x3f0, v3
	s_mov_b32 s0, 0x43a00
	buffer_store_dword v4, off, s[24:27], s0 ; 4-byte Folded Spill
	v_lshlrev_b32_e32 v4, 5, v1
	v_lshlrev_b32_e32 v1, 3, v1
	v_add_u32_e32 v5, 0x3f0, v1
	s_mov_b32 s0, 0x43b00
	v_lshlrev_b32_e32 v0, 3, v0
	buffer_store_dword v5, off, s[24:27], s0 ; 4-byte Folded Spill
	v_add_u32_e32 v5, 0x3f0, v0
	s_mov_b32 s3, 0x43c00
	buffer_store_dword v5, off, s[24:27], s3 ; 4-byte Folded Spill
	ds_read2_b64 v[5:8], v3 offset0:126 offset1:130
	s_mov_b32 s3, 0x43d00
	v_mov_b32_e32 v255, 0
	s_waitcnt lgkmcnt(0)
	buffer_store_dword v5, off, s[24:27], s3 ; 4-byte Folded Spill
	s_nop 0
	buffer_store_dword v6, off, s[24:27], s3 offset:4 ; 4-byte Folded Spill
	buffer_store_dword v7, off, s[24:27], s3 offset:8 ; 4-byte Folded Spill
	;; [unrolled: 1-line block ×3, first 2 shown]
	ds_read_b64 v[5:6], v255 offset:1136
	s_lshl_b64 s[0:1], s[6:7], 15
	s_mov_b32 s3, 0x44100
	s_waitcnt lgkmcnt(0)
	buffer_store_dword v5, off, s[24:27], s3 ; 4-byte Folded Spill
	s_nop 0
	buffer_store_dword v6, off, s[24:27], s3 offset:4 ; 4-byte Folded Spill
	v_lshl_or_b32 v2, v2, 7, s0
	v_mov_b32_e32 v5, s1
	v_add_co_u32_e32 v2, vcc, v2, v4
	v_addc_co_u32_e32 v4, vcc, 0, v5, vcc
	v_add_co_u32_e32 v2, vcc, v2, v0
	v_addc_co_u32_e32 v4, vcc, 0, v4, vcc
	v_mov_b32_e32 v5, s15
	v_add_co_u32_e32 v2, vcc, s14, v2
	s_mov_b32 s0, 0x44300
	buffer_store_dword v2, off, s[24:27], s0 ; 4-byte Folded Spill
	v_addc_co_u32_e32 v2, vcc, v5, v4, vcc
	ds_read_b64 v[4:5], v3 offset:1136
	s_mov_b32 s0, 0x44400
	s_mov_b32 s10, 0x44500
	buffer_store_dword v2, off, s[24:27], s0 ; 4-byte Folded Spill
	s_waitcnt lgkmcnt(0)
	buffer_store_dword v4, off, s[24:27], s10 ; 4-byte Folded Spill
	s_nop 0
	buffer_store_dword v5, off, s[24:27], s10 offset:4 ; 4-byte Folded Spill
	ds_read_b64 v[4:5], v1 offset:1136
	s_waitcnt lgkmcnt(0)
	buffer_store_dword v4, off, s[24:27], 0 offset:2300 ; 4-byte Folded Spill
	s_nop 0
	buffer_store_dword v5, off, s[24:27], 0 offset:2304 ; 4-byte Folded Spill
	ds_read_b64 v[4:5], v0 offset:1136
	s_mov_b32 s10, 0x44700
	s_waitcnt lgkmcnt(0)
	buffer_store_dword v4, off, s[24:27], s10 ; 4-byte Folded Spill
	s_nop 0
	buffer_store_dword v5, off, s[24:27], s10 offset:4 ; 4-byte Folded Spill
	ds_read2_b64 v[2:5], v3 offset0:134 offset1:138
	s_mov_b32 s10, 0x44900
	s_waitcnt lgkmcnt(0)
	buffer_store_dword v2, off, s[24:27], s10 ; 4-byte Folded Spill
	s_nop 0
	buffer_store_dword v3, off, s[24:27], s10 offset:4 ; 4-byte Folded Spill
	buffer_store_dword v4, off, s[24:27], s10 offset:8 ; 4-byte Folded Spill
	buffer_store_dword v5, off, s[24:27], s10 offset:12 ; 4-byte Folded Spill
	ds_read2_b64 v[2:5], v1 offset0:126 offset1:130
	s_mov_b32 s10, 0x44d00
	s_waitcnt lgkmcnt(0)
	buffer_store_dword v2, off, s[24:27], s10 ; 4-byte Folded Spill
	s_nop 0
	buffer_store_dword v3, off, s[24:27], s10 offset:4 ; 4-byte Folded Spill
	buffer_store_dword v4, off, s[24:27], s10 offset:8 ; 4-byte Folded Spill
	;; [unrolled: 8-line block ×7, first 2 shown]
	buffer_store_dword v3, off, s[24:27], s10 offset:12 ; 4-byte Folded Spill
	ds_read2_b64 v[0:3], v255 offset1:124
	s_waitcnt lgkmcnt(0)
	buffer_store_dword v0, off, s[24:27], 0 offset:20 ; 4-byte Folded Spill
	s_nop 0
	buffer_store_dword v1, off, s[24:27], 0 offset:24 ; 4-byte Folded Spill
	buffer_store_dword v2, off, s[24:27], 0 offset:28 ; 4-byte Folded Spill
	;; [unrolled: 1-line block ×3, first 2 shown]
	ds_read_b128 v[0:3], v255
	s_waitcnt lgkmcnt(0)
	buffer_store_dword v0, off, s[24:27], 0 offset:36 ; 4-byte Folded Spill
	s_nop 0
	buffer_store_dword v1, off, s[24:27], 0 offset:40 ; 4-byte Folded Spill
	buffer_store_dword v2, off, s[24:27], 0 offset:44 ; 4-byte Folded Spill
	buffer_store_dword v3, off, s[24:27], 0 offset:48 ; 4-byte Folded Spill
	ds_read2_b64 v[0:3], v255 offset0:1 offset1:2
	s_waitcnt lgkmcnt(0)
	buffer_store_dword v0, off, s[24:27], 0 offset:52 ; 4-byte Folded Spill
	s_nop 0
	buffer_store_dword v1, off, s[24:27], 0 offset:56 ; 4-byte Folded Spill
	buffer_store_dword v2, off, s[24:27], 0 offset:60 ; 4-byte Folded Spill
	buffer_store_dword v3, off, s[24:27], 0 offset:64 ; 4-byte Folded Spill
	ds_read_b128 v[0:3], v255 offset:16
	s_waitcnt lgkmcnt(0)
	buffer_store_dword v0, off, s[24:27], 0 offset:68 ; 4-byte Folded Spill
	s_nop 0
	buffer_store_dword v1, off, s[24:27], 0 offset:72 ; 4-byte Folded Spill
	buffer_store_dword v2, off, s[24:27], 0 offset:76 ; 4-byte Folded Spill
	buffer_store_dword v3, off, s[24:27], 0 offset:80 ; 4-byte Folded Spill
	ds_read2_b64 v[0:3], v255 offset0:3 offset1:4
	s_waitcnt lgkmcnt(0)
	buffer_store_dword v0, off, s[24:27], 0 offset:4 ; 4-byte Folded Spill
	s_nop 0
	buffer_store_dword v1, off, s[24:27], 0 offset:8 ; 4-byte Folded Spill
	buffer_store_dword v2, off, s[24:27], 0 offset:12 ; 4-byte Folded Spill
	buffer_store_dword v3, off, s[24:27], 0 offset:16 ; 4-byte Folded Spill
	ds_read_b128 v[0:3], v255 offset:32
	;; [unrolled: 14-line block ×16, first 2 shown]
	s_waitcnt lgkmcnt(0)
	buffer_store_dword v0, off, s[24:27], 0 offset:404 ; 4-byte Folded Spill
	s_nop 0
	buffer_store_dword v1, off, s[24:27], 0 offset:408 ; 4-byte Folded Spill
	buffer_store_dword v2, off, s[24:27], 0 offset:412 ; 4-byte Folded Spill
	buffer_store_dword v3, off, s[24:27], 0 offset:416 ; 4-byte Folded Spill
	ds_read_b128 v[0:3], v255 offset:272
	s_mov_b32 s10, 0x46500
	s_waitcnt lgkmcnt(0)
	buffer_store_dword v0, off, s[24:27], s10 ; 4-byte Folded Spill
	s_nop 0
	buffer_store_dword v1, off, s[24:27], s10 offset:4 ; 4-byte Folded Spill
	buffer_store_dword v2, off, s[24:27], s10 offset:8 ; 4-byte Folded Spill
	buffer_store_dword v3, off, s[24:27], s10 offset:12 ; 4-byte Folded Spill
	ds_read_b128 v[0:3], v255 offset:288
	s_waitcnt lgkmcnt(0)
	buffer_store_dword v0, off, s[24:27], 0 offset:2436 ; 4-byte Folded Spill
	s_nop 0
	buffer_store_dword v1, off, s[24:27], 0 offset:2440 ; 4-byte Folded Spill
	buffer_store_dword v2, off, s[24:27], 0 offset:2444 ; 4-byte Folded Spill
	buffer_store_dword v3, off, s[24:27], 0 offset:2448 ; 4-byte Folded Spill
	ds_read_b128 v[0:3], v255 offset:304
	s_waitcnt lgkmcnt(0)
	buffer_store_dword v0, off, s[24:27], 0 offset:420 ; 4-byte Folded Spill
	;; [unrolled: 7-line block ×15, first 2 shown]
	s_nop 0
	buffer_store_dword v1, off, s[24:27], 0 offset:2520 ; 4-byte Folded Spill
	buffer_store_dword v2, off, s[24:27], 0 offset:2524 ; 4-byte Folded Spill
	buffer_store_dword v3, off, s[24:27], 0 offset:2528 ; 4-byte Folded Spill
	ds_read_b128 v[0:3], v255 offset:528
	s_mov_b32 s10, 0x46900
	s_waitcnt lgkmcnt(0)
	buffer_store_dword v0, off, s[24:27], s10 ; 4-byte Folded Spill
	s_nop 0
	buffer_store_dword v1, off, s[24:27], s10 offset:4 ; 4-byte Folded Spill
	buffer_store_dword v2, off, s[24:27], s10 offset:8 ; 4-byte Folded Spill
	buffer_store_dword v3, off, s[24:27], s10 offset:12 ; 4-byte Folded Spill
	ds_read_b128 v[0:3], v255 offset:544
	s_mov_b32 s10, 0x46d00
	s_waitcnt lgkmcnt(0)
	buffer_store_dword v0, off, s[24:27], s10 ; 4-byte Folded Spill
	;; [unrolled: 8-line block ×38, first 2 shown]
	s_nop 0
	buffer_store_dword v1, off, s[24:27], s10 offset:4 ; 4-byte Folded Spill
	buffer_store_dword v2, off, s[24:27], s10 offset:8 ; 4-byte Folded Spill
	;; [unrolled: 1-line block ×3, first 2 shown]
	ds_read_b128 v[0:3], v255 offset:1152
	s_movk_i32 s2, 0x3f0
	s_mov_b64 s[0:1], 0
	s_movk_i32 s3, 0x2000
	s_movk_i32 s4, 0x4000
	s_movk_i32 s5, 0x6000
	s_movk_i32 s6, 0x1000
	s_movk_i32 s7, 0x3000
	s_movk_i32 s8, 0x5000
	s_movk_i32 s9, 0x7000
	s_mov_b32 s10, 0x50100
	s_waitcnt lgkmcnt(0)
	buffer_store_dword v0, off, s[24:27], s10 ; 4-byte Folded Spill
	s_nop 0
	buffer_store_dword v1, off, s[24:27], s10 offset:4 ; 4-byte Folded Spill
	buffer_store_dword v2, off, s[24:27], s10 offset:8 ; 4-byte Folded Spill
	buffer_store_dword v3, off, s[24:27], s10 offset:12 ; 4-byte Folded Spill
.LBB1_24:                               ; =>This Inner Loop Header: Depth=1
	s_mov_b32 s10, 0x44300
	buffer_load_dword v0, off, s[24:27], s10 ; 4-byte Folded Reload
	s_mov_b32 s10, 0x44400
	buffer_load_dword v1, off, s[24:27], s10 ; 4-byte Folded Reload
	s_mov_b32 s10, 0x45500
	v_mov_b32_e32 v18, s2
	s_waitcnt vmcnt(1)
	v_add_co_u32_e32 v2, vcc, s0, v0
	v_mov_b32_e32 v0, s1
	s_waitcnt vmcnt(0)
	v_addc_co_u32_e32 v3, vcc, v1, v0, vcc
	v_mov_b32_e32 v110, v3
	v_mov_b32_e32 v109, v2
	buffer_store_dword v109, off, s[24:27], 0 offset:2292 ; 4-byte Folded Spill
	s_nop 0
	buffer_store_dword v110, off, s[24:27], 0 offset:2296 ; 4-byte Folded Spill
	v_mov_b32_e32 v2, s2
	ds_read_b64 v[0:1], v2
	ds_read2_b64 v[12:15], v2 offset1:4
	s_waitcnt lgkmcnt(0)
	buffer_store_dword v12, off, s[24:27], 0 offset:2532 ; 4-byte Folded Spill
	s_nop 0
	buffer_store_dword v13, off, s[24:27], 0 offset:2536 ; 4-byte Folded Spill
	buffer_store_dword v14, off, s[24:27], 0 offset:2540 ; 4-byte Folded Spill
	;; [unrolled: 1-line block ×3, first 2 shown]
	buffer_load_dword v10, off, s[24:27], s10 ; 4-byte Folded Reload
	s_nop 0
	buffer_load_dword v11, off, s[24:27], s10 offset:4 ; 4-byte Folded Reload
	buffer_load_dword v12, off, s[24:27], s10 offset:8 ; 4-byte Folded Reload
	;; [unrolled: 1-line block ×3, first 2 shown]
	s_mov_b32 s10, 0x44d00
	buffer_load_dword v153, off, s[24:27], s10 ; 4-byte Folded Reload
	buffer_load_dword v154, off, s[24:27], s10 offset:4 ; 4-byte Folded Reload
	buffer_load_dword v155, off, s[24:27], s10 offset:8 ; 4-byte Folded Reload
	;; [unrolled: 1-line block ×3, first 2 shown]
	s_mov_b32 s10, 0x45d00
	s_add_u32 s0, s0, 0x200
	s_addc_u32 s1, s1, 0
	s_add_i32 s2, s2, 8
	s_cmp_lg_u64 s[0:1], 0x800
	s_waitcnt vmcnt(6)
	v_mul_f64 v[0:1], v[10:11], v[0:1]
	s_waitcnt vmcnt(2)
	v_mul_f64 v[2:3], v[153:154], v[0:1]
	buffer_store_dword v2, off, s[24:27], 0 offset:2564 ; 4-byte Folded Spill
	s_nop 0
	buffer_store_dword v3, off, s[24:27], 0 offset:2568 ; 4-byte Folded Spill
	buffer_load_dword v34, off, s[24:27], s10 ; 4-byte Folded Reload
	buffer_load_dword v35, off, s[24:27], s10 offset:4 ; 4-byte Folded Reload
	buffer_load_dword v36, off, s[24:27], s10 offset:8 ; 4-byte Folded Reload
	;; [unrolled: 1-line block ×3, first 2 shown]
	s_mov_b32 s10, 0x43d00
	buffer_load_dword v28, off, s[24:27], s10 ; 4-byte Folded Reload
	buffer_load_dword v29, off, s[24:27], s10 offset:4 ; 4-byte Folded Reload
	buffer_load_dword v30, off, s[24:27], s10 offset:8 ; 4-byte Folded Reload
	;; [unrolled: 1-line block ×3, first 2 shown]
	s_mov_b32 s10, 0x44900
	s_waitcnt vmcnt(6)
	v_mul_f64 v[2:3], v[34:35], v[2:3]
	s_waitcnt vmcnt(2)
	v_mul_f64 v[69:70], v[28:29], v[2:3]
	;; [unrolled: 2-line block ×3, first 2 shown]
	v_mul_f64 v[4:5], v[34:35], v[69:70]
	buffer_store_dword v69, off, s[24:27], 0 offset:2708 ; 4-byte Folded Spill
	s_nop 0
	buffer_store_dword v70, off, s[24:27], 0 offset:2712 ; 4-byte Folded Spill
	buffer_load_dword v59, off, s[24:27], 0 offset:20 ; 4-byte Folded Reload
	buffer_load_dword v60, off, s[24:27], 0 offset:24 ; 4-byte Folded Reload
	;; [unrolled: 1-line block ×4, first 2 shown]
	s_nop 0
	buffer_store_dword v6, off, s[24:27], 0 offset:884 ; 4-byte Folded Spill
	s_nop 0
	buffer_store_dword v7, off, s[24:27], 0 offset:888 ; 4-byte Folded Spill
	buffer_load_dword v8, off, s[24:27], 0 offset:36 ; 4-byte Folded Reload
	buffer_load_dword v9, off, s[24:27], 0 offset:40 ; 4-byte Folded Reload
	;; [unrolled: 1-line block ×4, first 2 shown]
	buffer_load_dword v39, off, s[24:27], s10 ; 4-byte Folded Reload
	buffer_load_dword v40, off, s[24:27], s10 offset:4 ; 4-byte Folded Reload
	buffer_load_dword v41, off, s[24:27], s10 offset:8 ; 4-byte Folded Reload
	;; [unrolled: 1-line block ×3, first 2 shown]
	s_mov_b32 s10, 0x46100
	s_waitcnt vmcnt(12)
	v_fma_f64 v[4:5], v[59:60], v[4:5], 0
	v_mul_f64 v[6:7], v[36:37], v[6:7]
	s_waitcnt vmcnt(4)
	v_mov_b32_e32 v236, v11
	v_mov_b32_e32 v235, v10
	;; [unrolled: 1-line block ×4, first 2 shown]
	s_waitcnt vmcnt(0)
	v_mul_f64 v[75:76], v[41:42], v[2:3]
	v_fma_f64 v[4:5], v[10:11], v[6:7], v[4:5]
	v_mul_f64 v[6:7], v[39:40], v[2:3]
	buffer_store_dword v6, off, s[24:27], 0 offset:2228 ; 4-byte Folded Spill
	s_nop 0
	buffer_store_dword v7, off, s[24:27], 0 offset:2232 ; 4-byte Folded Spill
	buffer_load_dword v8, off, s[24:27], s10 ; 4-byte Folded Reload
	buffer_load_dword v9, off, s[24:27], s10 offset:4 ; 4-byte Folded Reload
	buffer_load_dword v10, off, s[24:27], s10 offset:8 ; 4-byte Folded Reload
	;; [unrolled: 1-line block ×7, first 2 shown]
	s_mov_b32 s10, 0x44500
	s_waitcnt vmcnt(6)
	v_mul_f64 v[6:7], v[8:9], v[6:7]
	s_waitcnt vmcnt(0)
	v_fma_f64 v[4:5], v[65:66], v[6:7], v[4:5]
	v_mul_f64 v[6:7], v[10:11], v[75:76]
	buffer_store_dword v75, off, s[24:27], 0 offset:2724 ; 4-byte Folded Spill
	s_nop 0
	buffer_store_dword v76, off, s[24:27], 0 offset:2728 ; 4-byte Folded Spill
	buffer_load_dword v231, off, s[24:27], 0 offset:68 ; 4-byte Folded Reload
	buffer_load_dword v232, off, s[24:27], 0 offset:72 ; 4-byte Folded Reload
	buffer_load_dword v233, off, s[24:27], 0 offset:76 ; 4-byte Folded Reload
	buffer_load_dword v234, off, s[24:27], 0 offset:80 ; 4-byte Folded Reload
	buffer_load_dword v67, off, s[24:27], s10 ; 4-byte Folded Reload
	buffer_load_dword v68, off, s[24:27], s10 offset:4 ; 4-byte Folded Reload
	s_mov_b32 s10, 0x44100
	buffer_load_dword v16, off, s[24:27], s10 ; 4-byte Folded Reload
	buffer_load_dword v17, off, s[24:27], s10 offset:4 ; 4-byte Folded Reload
	s_mov_b32 s10, 0x45100
	s_waitcnt vmcnt(4)
	v_fma_f64 v[4:5], v[233:234], v[6:7], v[4:5]
	s_waitcnt vmcnt(2)
	v_mul_f64 v[79:80], v[67:68], v[2:3]
	s_waitcnt vmcnt(0)
	v_mul_f64 v[2:3], v[16:17], v[79:80]
	buffer_store_dword v79, off, s[24:27], 0 offset:2740 ; 4-byte Folded Spill
	s_nop 0
	buffer_store_dword v80, off, s[24:27], 0 offset:2744 ; 4-byte Folded Spill
	buffer_load_dword v19, off, s[24:27], 0 offset:4 ; 4-byte Folded Reload
	buffer_load_dword v20, off, s[24:27], 0 offset:8 ; 4-byte Folded Reload
	;; [unrolled: 1-line block ×4, first 2 shown]
	s_waitcnt vmcnt(0)
	v_fma_f64 v[2:3], v[2:3], v[21:22], v[4:5]
	v_mul_f64 v[4:5], v[155:156], v[0:1]
	buffer_store_dword v4, off, s[24:27], 0 offset:2580 ; 4-byte Folded Spill
	s_nop 0
	buffer_store_dword v5, off, s[24:27], 0 offset:2584 ; 4-byte Folded Spill
	v_mul_f64 v[4:5], v[36:37], v[4:5]
	v_mul_f64 v[19:20], v[28:29], v[4:5]
	v_mov_b32_e32 v84, v20
	v_mov_b32_e32 v83, v19
	buffer_store_dword v83, off, s[24:27], 0 offset:2772 ; 4-byte Folded Spill
	s_nop 0
	buffer_store_dword v84, off, s[24:27], 0 offset:2776 ; 4-byte Folded Spill
	v_mul_f64 v[6:7], v[34:35], v[19:20]
	buffer_load_dword v19, off, s[24:27], 0 offset:84 ; 4-byte Folded Reload
	buffer_load_dword v20, off, s[24:27], 0 offset:88 ; 4-byte Folded Reload
	;; [unrolled: 1-line block ×4, first 2 shown]
	s_waitcnt vmcnt(0)
	v_fma_f64 v[2:3], v[6:7], v[21:22], v[2:3]
	v_mul_f64 v[6:7], v[30:31], v[4:5]
	buffer_store_dword v6, off, s[24:27], 0 offset:2212 ; 4-byte Folded Spill
	s_nop 0
	buffer_store_dword v7, off, s[24:27], 0 offset:2216 ; 4-byte Folded Spill
	buffer_load_dword v19, off, s[24:27], 0 offset:100 ; 4-byte Folded Reload
	buffer_load_dword v20, off, s[24:27], 0 offset:104 ; 4-byte Folded Reload
	buffer_load_dword v21, off, s[24:27], 0 offset:108 ; 4-byte Folded Reload
	buffer_load_dword v22, off, s[24:27], 0 offset:112 ; 4-byte Folded Reload
	v_mul_f64 v[6:7], v[36:37], v[6:7]
	s_waitcnt vmcnt(0)
	v_fma_f64 v[2:3], v[6:7], v[21:22], v[2:3]
	v_mul_f64 v[6:7], v[39:40], v[4:5]
	buffer_store_dword v6, off, s[24:27], 0 offset:612 ; 4-byte Folded Spill
	s_nop 0
	buffer_store_dword v7, off, s[24:27], 0 offset:616 ; 4-byte Folded Spill
	buffer_load_dword v19, off, s[24:27], 0 offset:116 ; 4-byte Folded Reload
	buffer_load_dword v20, off, s[24:27], 0 offset:120 ; 4-byte Folded Reload
	buffer_load_dword v21, off, s[24:27], 0 offset:124 ; 4-byte Folded Reload
	buffer_load_dword v22, off, s[24:27], 0 offset:128 ; 4-byte Folded Reload
	v_mul_f64 v[6:7], v[8:9], v[6:7]
	;; [unrolled: 11-line block ×3, first 2 shown]
	buffer_store_dword v4, off, s[24:27], 0 offset:644 ; 4-byte Folded Spill
	s_nop 0
	buffer_store_dword v5, off, s[24:27], 0 offset:648 ; 4-byte Folded Spill
	v_mul_f64 v[6:7], v[10:11], v[6:7]
	s_waitcnt vmcnt(2)
	v_fma_f64 v[2:3], v[6:7], v[21:22], v[2:3]
	buffer_load_dword v19, off, s[24:27], 0 offset:2308 ; 4-byte Folded Reload
	buffer_load_dword v20, off, s[24:27], 0 offset:2312 ; 4-byte Folded Reload
	;; [unrolled: 1-line block ×4, first 2 shown]
	buffer_load_dword v161, off, s[24:27], s10 ; 4-byte Folded Reload
	buffer_load_dword v162, off, s[24:27], s10 offset:4 ; 4-byte Folded Reload
	buffer_load_dword v163, off, s[24:27], s10 offset:8 ; 4-byte Folded Reload
	;; [unrolled: 1-line block ×3, first 2 shown]
	v_mul_f64 v[4:5], v[16:17], v[4:5]
	s_mov_b32 s10, 0x46500
	s_waitcnt vmcnt(4)
	v_fma_f64 v[2:3], v[4:5], v[21:22], v[2:3]
	s_waitcnt vmcnt(2)
	v_mul_f64 v[4:5], v[161:162], v[0:1]
	buffer_store_dword v4, off, s[24:27], 0 offset:2596 ; 4-byte Folded Spill
	s_nop 0
	buffer_store_dword v5, off, s[24:27], 0 offset:2600 ; 4-byte Folded Spill
	v_mul_f64 v[4:5], v[8:9], v[4:5]
	v_mul_f64 v[6:7], v[28:29], v[4:5]
	buffer_store_dword v6, off, s[24:27], 0 offset:660 ; 4-byte Folded Spill
	s_nop 0
	buffer_store_dword v7, off, s[24:27], 0 offset:664 ; 4-byte Folded Spill
	buffer_load_dword v19, off, s[24:27], 0 offset:148 ; 4-byte Folded Reload
	buffer_load_dword v20, off, s[24:27], 0 offset:152 ; 4-byte Folded Reload
	;; [unrolled: 1-line block ×4, first 2 shown]
	v_mul_f64 v[26:27], v[30:31], v[4:5]
	v_mul_f64 v[73:74], v[39:40], v[4:5]
	;; [unrolled: 1-line block ×6, first 2 shown]
	s_waitcnt vmcnt(0)
	v_fma_f64 v[2:3], v[6:7], v[21:22], v[2:3]
	v_mul_f64 v[6:7], v[36:37], v[26:27]
	buffer_store_dword v26, off, s[24:27], 0 offset:2788 ; 4-byte Folded Spill
	s_nop 0
	buffer_store_dword v27, off, s[24:27], 0 offset:2792 ; 4-byte Folded Spill
	buffer_load_dword v19, off, s[24:27], 0 offset:2324 ; 4-byte Folded Reload
	buffer_load_dword v20, off, s[24:27], 0 offset:2328 ; 4-byte Folded Reload
	buffer_load_dword v21, off, s[24:27], 0 offset:2332 ; 4-byte Folded Reload
	buffer_load_dword v22, off, s[24:27], 0 offset:2336 ; 4-byte Folded Reload
	s_waitcnt vmcnt(0)
	v_fma_f64 v[2:3], v[6:7], v[21:22], v[2:3]
	v_mul_f64 v[6:7], v[8:9], v[73:74]
	buffer_store_dword v73, off, s[24:27], 0 offset:2812 ; 4-byte Folded Spill
	s_nop 0
	buffer_store_dword v74, off, s[24:27], 0 offset:2816 ; 4-byte Folded Spill
	buffer_load_dword v19, off, s[24:27], 0 offset:164 ; 4-byte Folded Reload
	buffer_load_dword v20, off, s[24:27], 0 offset:168 ; 4-byte Folded Reload
	buffer_load_dword v21, off, s[24:27], 0 offset:172 ; 4-byte Folded Reload
	buffer_load_dword v22, off, s[24:27], 0 offset:176 ; 4-byte Folded Reload
	;; [unrolled: 10-line block ×3, first 2 shown]
	s_waitcnt vmcnt(0)
	v_fma_f64 v[2:3], v[6:7], v[21:22], v[2:3]
	buffer_load_dword v19, off, s[24:27], 0 offset:196 ; 4-byte Folded Reload
	buffer_load_dword v20, off, s[24:27], 0 offset:200 ; 4-byte Folded Reload
	;; [unrolled: 1-line block ×4, first 2 shown]
	s_waitcnt vmcnt(0)
	v_fma_f64 v[2:3], v[4:5], v[21:22], v[2:3]
	v_mul_f64 v[4:5], v[163:164], v[0:1]
	buffer_store_dword v4, off, s[24:27], 0 offset:2628 ; 4-byte Folded Spill
	s_nop 0
	buffer_store_dword v5, off, s[24:27], 0 offset:2632 ; 4-byte Folded Spill
	v_mul_f64 v[4:5], v[10:11], v[4:5]
	v_mul_f64 v[6:7], v[28:29], v[4:5]
	buffer_store_dword v6, off, s[24:27], 0 offset:788 ; 4-byte Folded Spill
	s_nop 0
	buffer_store_dword v7, off, s[24:27], 0 offset:792 ; 4-byte Folded Spill
	buffer_load_dword v217, off, s[24:27], 0 offset:2340 ; 4-byte Folded Reload
	buffer_load_dword v218, off, s[24:27], 0 offset:2344 ; 4-byte Folded Reload
	;; [unrolled: 1-line block ×8, first 2 shown]
	v_mul_f64 v[89:90], v[30:31], v[4:5]
	v_mul_f64 v[91:92], v[39:40], v[4:5]
	;; [unrolled: 1-line block ×5, first 2 shown]
	s_waitcnt vmcnt(0)
	v_mov_b32_e32 v88, v22
	v_mov_b32_e32 v87, v21
	;; [unrolled: 1-line block ×4, first 2 shown]
	v_fma_f64 v[2:3], v[6:7], v[219:220], v[2:3]
	v_mul_f64 v[6:7], v[36:37], v[89:90]
	v_fma_f64 v[2:3], v[6:7], v[21:22], v[2:3]
	buffer_load_dword v19, off, s[24:27], 0 offset:212 ; 4-byte Folded Reload
	buffer_load_dword v20, off, s[24:27], 0 offset:216 ; 4-byte Folded Reload
	;; [unrolled: 1-line block ×4, first 2 shown]
	v_mul_f64 v[6:7], v[8:9], v[91:92]
	s_waitcnt vmcnt(0)
	v_fma_f64 v[2:3], v[6:7], v[21:22], v[2:3]
	buffer_load_dword v19, off, s[24:27], 0 offset:228 ; 4-byte Folded Reload
	buffer_load_dword v20, off, s[24:27], 0 offset:232 ; 4-byte Folded Reload
	;; [unrolled: 1-line block ×4, first 2 shown]
	v_mul_f64 v[6:7], v[10:11], v[32:33]
	buffer_store_dword v4, off, s[24:27], 0 offset:676 ; 4-byte Folded Spill
	s_nop 0
	buffer_store_dword v5, off, s[24:27], 0 offset:680 ; 4-byte Folded Spill
	s_waitcnt vmcnt(2)
	v_fma_f64 v[2:3], v[6:7], v[21:22], v[2:3]
	buffer_load_dword v19, off, s[24:27], 0 offset:244 ; 4-byte Folded Reload
	buffer_load_dword v20, off, s[24:27], 0 offset:248 ; 4-byte Folded Reload
	;; [unrolled: 1-line block ×4, first 2 shown]
	v_mul_f64 v[4:5], v[16:17], v[4:5]
	s_waitcnt vmcnt(0)
	v_fma_f64 v[2:3], v[4:5], v[21:22], v[2:3]
	buffer_load_dword v4, off, s[24:27], 0 offset:2300 ; 4-byte Folded Reload
	buffer_load_dword v5, off, s[24:27], 0 offset:2304 ; 4-byte Folded Reload
	s_waitcnt vmcnt(0)
	v_mul_f64 v[0:1], v[4:5], v[0:1]
	buffer_store_dword v0, off, s[24:27], 0 offset:2660 ; 4-byte Folded Spill
	s_nop 0
	buffer_store_dword v1, off, s[24:27], 0 offset:2664 ; 4-byte Folded Spill
	v_mov_b32_e32 v20, v5
	v_mov_b32_e32 v19, v4
	v_mul_f64 v[0:1], v[16:17], v[0:1]
	v_mul_f64 v[93:94], v[28:29], v[0:1]
	;; [unrolled: 1-line block ×4, first 2 shown]
	buffer_store_dword v93, off, s[24:27], 0 offset:2756 ; 4-byte Folded Spill
	s_nop 0
	buffer_store_dword v94, off, s[24:27], 0 offset:2760 ; 4-byte Folded Spill
	buffer_load_dword v95, off, s[24:27], 0 offset:2372 ; 4-byte Folded Reload
	buffer_load_dword v96, off, s[24:27], 0 offset:2376 ; 4-byte Folded Reload
	;; [unrolled: 1-line block ×8, first 2 shown]
	v_mov_b32_e32 v100, v7
	v_mov_b32_e32 v99, v6
	s_waitcnt vmcnt(4)
	v_fma_f64 v[2:3], v[4:5], v[97:98], v[2:3]
	v_mul_f64 v[4:5], v[36:37], v[6:7]
	s_waitcnt vmcnt(0)
	v_fma_f64 v[2:3], v[4:5], v[23:24], v[2:3]
	v_mul_f64 v[4:5], v[39:40], v[0:1]
	buffer_store_dword v4, off, s[24:27], 0 offset:692 ; 4-byte Folded Spill
	s_nop 0
	buffer_store_dword v5, off, s[24:27], 0 offset:696 ; 4-byte Folded Spill
	buffer_load_dword v21, off, s[24:27], 0 offset:260 ; 4-byte Folded Reload
	buffer_load_dword v22, off, s[24:27], 0 offset:264 ; 4-byte Folded Reload
	;; [unrolled: 1-line block ×4, first 2 shown]
	v_mul_f64 v[4:5], v[8:9], v[4:5]
	s_waitcnt vmcnt(0)
	v_fma_f64 v[2:3], v[4:5], v[23:24], v[2:3]
	v_mul_f64 v[4:5], v[41:42], v[0:1]
	buffer_store_dword v4, off, s[24:27], 0 offset:708 ; 4-byte Folded Spill
	s_nop 0
	buffer_store_dword v5, off, s[24:27], 0 offset:712 ; 4-byte Folded Spill
	buffer_load_dword v21, off, s[24:27], 0 offset:276 ; 4-byte Folded Reload
	buffer_load_dword v22, off, s[24:27], 0 offset:280 ; 4-byte Folded Reload
	;; [unrolled: 1-line block ×4, first 2 shown]
	v_mul_f64 v[0:1], v[67:68], v[0:1]
	buffer_store_dword v0, off, s[24:27], 0 offset:724 ; 4-byte Folded Spill
	s_nop 0
	buffer_store_dword v1, off, s[24:27], 0 offset:728 ; 4-byte Folded Spill
	v_mul_f64 v[4:5], v[10:11], v[4:5]
	s_waitcnt vmcnt(2)
	v_fma_f64 v[2:3], v[4:5], v[23:24], v[2:3]
	buffer_load_dword v4, off, s[24:27], 0 offset:292 ; 4-byte Folded Reload
	buffer_load_dword v5, off, s[24:27], 0 offset:296 ; 4-byte Folded Reload
	;; [unrolled: 1-line block ×4, first 2 shown]
	v_mul_f64 v[0:1], v[16:17], v[0:1]
	s_waitcnt vmcnt(0)
	v_fma_f64 v[0:1], v[0:1], v[6:7], v[2:3]
	v_mul_f64 v[2:3], v[12:13], v[14:15]
	v_mul_f64 v[4:5], v[153:154], v[2:3]
	buffer_store_dword v4, off, s[24:27], 0 offset:2676 ; 4-byte Folded Spill
	s_nop 0
	buffer_store_dword v5, off, s[24:27], 0 offset:2680 ; 4-byte Folded Spill
	v_mul_f64 v[4:5], v[34:35], v[4:5]
	v_mul_f64 v[101:102], v[28:29], v[4:5]
	;; [unrolled: 1-line block ×4, first 2 shown]
	buffer_store_dword v101, off, s[24:27], 0 offset:2860 ; 4-byte Folded Spill
	s_nop 0
	buffer_store_dword v102, off, s[24:27], 0 offset:2864 ; 4-byte Folded Spill
	buffer_load_dword v225, off, s[24:27], 0 offset:2404 ; 4-byte Folded Reload
	buffer_load_dword v226, off, s[24:27], 0 offset:2408 ; 4-byte Folded Reload
	;; [unrolled: 1-line block ×8, first 2 shown]
	s_waitcnt vmcnt(4)
	v_fma_f64 v[0:1], v[227:228], v[6:7], v[0:1]
	v_mul_f64 v[6:7], v[36:37], v[103:104]
	s_waitcnt vmcnt(0)
	v_fma_f64 v[0:1], v[14:15], v[6:7], v[0:1]
	v_mul_f64 v[6:7], v[39:40], v[4:5]
	buffer_store_dword v6, off, s[24:27], 0 offset:740 ; 4-byte Folded Spill
	s_nop 0
	buffer_store_dword v7, off, s[24:27], 0 offset:744 ; 4-byte Folded Spill
	buffer_load_dword v12, off, s[24:27], 0 offset:324 ; 4-byte Folded Reload
	buffer_load_dword v13, off, s[24:27], 0 offset:328 ; 4-byte Folded Reload
	;; [unrolled: 1-line block ×4, first 2 shown]
	v_mul_f64 v[6:7], v[8:9], v[6:7]
	s_waitcnt vmcnt(0)
	v_fma_f64 v[0:1], v[14:15], v[6:7], v[0:1]
	v_mul_f64 v[6:7], v[41:42], v[4:5]
	buffer_store_dword v6, off, s[24:27], 0 offset:756 ; 4-byte Folded Spill
	s_nop 0
	buffer_store_dword v7, off, s[24:27], 0 offset:760 ; 4-byte Folded Spill
	buffer_load_dword v12, off, s[24:27], 0 offset:340 ; 4-byte Folded Reload
	buffer_load_dword v13, off, s[24:27], 0 offset:344 ; 4-byte Folded Reload
	;; [unrolled: 1-line block ×4, first 2 shown]
	v_mul_f64 v[4:5], v[67:68], v[4:5]
	buffer_store_dword v4, off, s[24:27], 0 offset:772 ; 4-byte Folded Spill
	s_nop 0
	buffer_store_dword v5, off, s[24:27], 0 offset:776 ; 4-byte Folded Spill
	v_mul_f64 v[6:7], v[10:11], v[6:7]
	s_waitcnt vmcnt(2)
	v_fma_f64 v[0:1], v[14:15], v[6:7], v[0:1]
	buffer_load_dword v12, off, s[24:27], 0 offset:356 ; 4-byte Folded Reload
	buffer_load_dword v13, off, s[24:27], 0 offset:360 ; 4-byte Folded Reload
	;; [unrolled: 1-line block ×4, first 2 shown]
	v_mul_f64 v[4:5], v[16:17], v[4:5]
	s_waitcnt vmcnt(0)
	v_fma_f64 v[0:1], v[4:5], v[14:15], v[0:1]
	v_mul_f64 v[4:5], v[155:156], v[2:3]
	buffer_store_dword v4, off, s[24:27], 0 offset:2692 ; 4-byte Folded Spill
	s_nop 0
	buffer_store_dword v5, off, s[24:27], 0 offset:2696 ; 4-byte Folded Spill
	v_mul_f64 v[4:5], v[36:37], v[4:5]
	v_mul_f64 v[6:7], v[28:29], v[4:5]
	buffer_store_dword v6, off, s[24:27], 0 offset:804 ; 4-byte Folded Spill
	s_nop 0
	buffer_store_dword v7, off, s[24:27], 0 offset:808 ; 4-byte Folded Spill
	buffer_load_dword v12, off, s[24:27], 0 offset:2420 ; 4-byte Folded Reload
	buffer_load_dword v13, off, s[24:27], 0 offset:2424 ; 4-byte Folded Reload
	;; [unrolled: 1-line block ×4, first 2 shown]
	v_mul_f64 v[6:7], v[34:35], v[6:7]
	s_waitcnt vmcnt(0)
	v_mov_b32_e32 v108, v15
	v_mov_b32_e32 v107, v14
	;; [unrolled: 1-line block ×4, first 2 shown]
	v_fma_f64 v[0:1], v[6:7], v[14:15], v[0:1]
	v_mul_f64 v[6:7], v[30:31], v[4:5]
	buffer_store_dword v6, off, s[24:27], 0 offset:820 ; 4-byte Folded Spill
	s_nop 0
	buffer_store_dword v7, off, s[24:27], 0 offset:824 ; 4-byte Folded Spill
	buffer_load_dword v12, off, s[24:27], 0 offset:372 ; 4-byte Folded Reload
	buffer_load_dword v13, off, s[24:27], 0 offset:376 ; 4-byte Folded Reload
	;; [unrolled: 1-line block ×4, first 2 shown]
	v_mul_f64 v[6:7], v[36:37], v[6:7]
	s_waitcnt vmcnt(0)
	v_fma_f64 v[0:1], v[6:7], v[14:15], v[0:1]
	v_mul_f64 v[6:7], v[39:40], v[4:5]
	buffer_store_dword v6, off, s[24:27], 0 offset:836 ; 4-byte Folded Spill
	s_nop 0
	buffer_store_dword v7, off, s[24:27], 0 offset:840 ; 4-byte Folded Spill
	buffer_load_dword v12, off, s[24:27], 0 offset:388 ; 4-byte Folded Reload
	buffer_load_dword v13, off, s[24:27], 0 offset:392 ; 4-byte Folded Reload
	;; [unrolled: 1-line block ×4, first 2 shown]
	v_mul_f64 v[6:7], v[8:9], v[6:7]
	s_waitcnt vmcnt(0)
	v_fma_f64 v[0:1], v[6:7], v[14:15], v[0:1]
	v_mul_f64 v[6:7], v[41:42], v[4:5]
	buffer_store_dword v6, off, s[24:27], 0 offset:852 ; 4-byte Folded Spill
	s_nop 0
	buffer_store_dword v7, off, s[24:27], 0 offset:856 ; 4-byte Folded Spill
	v_mul_f64 v[4:5], v[67:68], v[4:5]
	buffer_load_dword v12, off, s[24:27], 0 offset:404 ; 4-byte Folded Reload
	buffer_load_dword v13, off, s[24:27], 0 offset:408 ; 4-byte Folded Reload
	;; [unrolled: 1-line block ×4, first 2 shown]
	s_nop 0
	buffer_store_dword v4, off, s[24:27], 0 offset:868 ; 4-byte Folded Spill
	s_nop 0
	buffer_store_dword v5, off, s[24:27], 0 offset:872 ; 4-byte Folded Spill
	buffer_load_dword v43, off, s[24:27], s10 ; 4-byte Folded Reload
	buffer_load_dword v44, off, s[24:27], s10 offset:4 ; 4-byte Folded Reload
	buffer_load_dword v45, off, s[24:27], s10 offset:8 ; 4-byte Folded Reload
	buffer_load_dword v46, off, s[24:27], s10 offset:12 ; 4-byte Folded Reload
	s_mov_b32 s10, 0x45900
	v_mul_f64 v[6:7], v[10:11], v[6:7]
	s_waitcnt vmcnt(6)
	v_fma_f64 v[0:1], v[6:7], v[14:15], v[0:1]
	v_mul_f64 v[4:5], v[16:17], v[4:5]
	s_waitcnt vmcnt(2)
	v_fma_f64 v[0:1], v[4:5], v[43:44], v[0:1]
	v_mul_f64 v[4:5], v[161:162], v[2:3]
	buffer_store_dword v4, off, s[24:27], 0 offset:2644 ; 4-byte Folded Spill
	s_nop 0
	buffer_store_dword v5, off, s[24:27], 0 offset:2648 ; 4-byte Folded Spill
	v_mul_f64 v[4:5], v[8:9], v[4:5]
	v_mul_f64 v[6:7], v[28:29], v[4:5]
	buffer_store_dword v6, off, s[24:27], 0 offset:900 ; 4-byte Folded Spill
	s_nop 0
	buffer_store_dword v7, off, s[24:27], 0 offset:904 ; 4-byte Folded Spill
	v_mul_f64 v[6:7], v[34:35], v[6:7]
	s_waitcnt vmcnt(4)
	v_fma_f64 v[0:1], v[6:7], v[45:46], v[0:1]
	v_mul_f64 v[6:7], v[30:31], v[4:5]
	buffer_store_dword v6, off, s[24:27], 0 offset:996 ; 4-byte Folded Spill
	s_nop 0
	buffer_store_dword v7, off, s[24:27], 0 offset:1000 ; 4-byte Folded Spill
	buffer_load_dword v12, off, s[24:27], 0 offset:2436 ; 4-byte Folded Reload
	buffer_load_dword v13, off, s[24:27], 0 offset:2440 ; 4-byte Folded Reload
	buffer_load_dword v14, off, s[24:27], 0 offset:2444 ; 4-byte Folded Reload
	buffer_load_dword v15, off, s[24:27], 0 offset:2448 ; 4-byte Folded Reload
	v_mul_f64 v[6:7], v[36:37], v[6:7]
	s_waitcnt vmcnt(2)
	v_fma_f64 v[0:1], v[6:7], v[12:13], v[0:1]
	v_mul_f64 v[6:7], v[39:40], v[4:5]
	buffer_store_dword v6, off, s[24:27], 0 offset:1012 ; 4-byte Folded Spill
	s_nop 0
	buffer_store_dword v7, off, s[24:27], 0 offset:1016 ; 4-byte Folded Spill
	v_mul_f64 v[6:7], v[8:9], v[6:7]
	s_waitcnt vmcnt(2)
	v_fma_f64 v[0:1], v[6:7], v[14:15], v[0:1]
	v_mul_f64 v[6:7], v[41:42], v[4:5]
	buffer_store_dword v6, off, s[24:27], 0 offset:1028 ; 4-byte Folded Spill
	s_nop 0
	buffer_store_dword v7, off, s[24:27], 0 offset:1032 ; 4-byte Folded Spill
	v_mul_f64 v[4:5], v[67:68], v[4:5]
	buffer_load_dword v12, off, s[24:27], 0 offset:420 ; 4-byte Folded Reload
	buffer_load_dword v13, off, s[24:27], 0 offset:424 ; 4-byte Folded Reload
	;; [unrolled: 1-line block ×4, first 2 shown]
	s_nop 0
	buffer_store_dword v4, off, s[24:27], 0 offset:916 ; 4-byte Folded Spill
	s_nop 0
	buffer_store_dword v5, off, s[24:27], 0 offset:920 ; 4-byte Folded Spill
	v_mul_f64 v[6:7], v[10:11], v[6:7]
	s_waitcnt vmcnt(4)
	v_fma_f64 v[0:1], v[6:7], v[12:13], v[0:1]
	v_mul_f64 v[4:5], v[16:17], v[4:5]
	s_waitcnt vmcnt(2)
	v_fma_f64 v[0:1], v[4:5], v[14:15], v[0:1]
	v_mul_f64 v[4:5], v[163:164], v[2:3]
	buffer_store_dword v4, off, s[24:27], 0 offset:2612 ; 4-byte Folded Spill
	s_nop 0
	buffer_store_dword v5, off, s[24:27], 0 offset:2616 ; 4-byte Folded Spill
	v_mul_f64 v[2:3], v[19:20], v[2:3]
	v_mul_f64 v[4:5], v[10:11], v[4:5]
	;; [unrolled: 1-line block ×3, first 2 shown]
	buffer_store_dword v6, off, s[24:27], 0 offset:1076 ; 4-byte Folded Spill
	s_nop 0
	buffer_store_dword v7, off, s[24:27], 0 offset:1080 ; 4-byte Folded Spill
	buffer_load_dword v12, off, s[24:27], 0 offset:436 ; 4-byte Folded Reload
	buffer_load_dword v13, off, s[24:27], 0 offset:440 ; 4-byte Folded Reload
	;; [unrolled: 1-line block ×4, first 2 shown]
	v_mul_f64 v[6:7], v[34:35], v[6:7]
	s_waitcnt vmcnt(2)
	v_fma_f64 v[0:1], v[6:7], v[12:13], v[0:1]
	v_mul_f64 v[6:7], v[30:31], v[4:5]
	buffer_store_dword v6, off, s[24:27], 0 offset:932 ; 4-byte Folded Spill
	s_nop 0
	buffer_store_dword v7, off, s[24:27], 0 offset:936 ; 4-byte Folded Spill
	v_mul_f64 v[6:7], v[36:37], v[6:7]
	s_waitcnt vmcnt(2)
	v_fma_f64 v[0:1], v[6:7], v[14:15], v[0:1]
	v_mul_f64 v[6:7], v[39:40], v[4:5]
	buffer_store_dword v6, off, s[24:27], 0 offset:948 ; 4-byte Folded Spill
	s_nop 0
	buffer_store_dword v7, off, s[24:27], 0 offset:952 ; 4-byte Folded Spill
	buffer_load_dword v12, off, s[24:27], 0 offset:452 ; 4-byte Folded Reload
	buffer_load_dword v13, off, s[24:27], 0 offset:456 ; 4-byte Folded Reload
	;; [unrolled: 1-line block ×4, first 2 shown]
	v_mul_f64 v[6:7], v[8:9], v[6:7]
	s_waitcnt vmcnt(2)
	v_fma_f64 v[0:1], v[6:7], v[12:13], v[0:1]
	v_mul_f64 v[6:7], v[41:42], v[4:5]
	v_mul_f64 v[4:5], v[67:68], v[4:5]
	buffer_store_dword v6, off, s[24:27], 0 offset:964 ; 4-byte Folded Spill
	s_nop 0
	buffer_store_dword v7, off, s[24:27], 0 offset:968 ; 4-byte Folded Spill
	buffer_store_dword v4, off, s[24:27], 0 offset:980 ; 4-byte Folded Spill
	s_nop 0
	buffer_store_dword v5, off, s[24:27], 0 offset:984 ; 4-byte Folded Spill
	buffer_load_dword v47, off, s[24:27], 0 offset:2452 ; 4-byte Folded Reload
	buffer_load_dword v48, off, s[24:27], 0 offset:2456 ; 4-byte Folded Reload
	;; [unrolled: 1-line block ×4, first 2 shown]
	s_nop 0
	buffer_store_dword v2, off, s[24:27], 0 offset:2548 ; 4-byte Folded Spill
	s_nop 0
	buffer_store_dword v3, off, s[24:27], 0 offset:2552 ; 4-byte Folded Spill
	v_mul_f64 v[6:7], v[10:11], v[6:7]
	v_mul_f64 v[4:5], v[16:17], v[4:5]
	;; [unrolled: 1-line block ×3, first 2 shown]
	s_waitcnt vmcnt(10)
	v_fma_f64 v[0:1], v[6:7], v[14:15], v[0:1]
	s_waitcnt vmcnt(4)
	v_fma_f64 v[0:1], v[4:5], v[47:48], v[0:1]
	v_mul_f64 v[4:5], v[28:29], v[2:3]
	buffer_store_dword v4, off, s[24:27], 0 offset:1092 ; 4-byte Folded Spill
	s_nop 0
	buffer_store_dword v5, off, s[24:27], 0 offset:1096 ; 4-byte Folded Spill
	v_mul_f64 v[4:5], v[34:35], v[4:5]
	s_waitcnt vmcnt(4)
	v_fma_f64 v[0:1], v[4:5], v[49:50], v[0:1]
	v_mul_f64 v[4:5], v[30:31], v[2:3]
	buffer_store_dword v4, off, s[24:27], 0 offset:1188 ; 4-byte Folded Spill
	s_nop 0
	buffer_store_dword v5, off, s[24:27], 0 offset:1192 ; 4-byte Folded Spill
	buffer_load_dword v12, off, s[24:27], 0 offset:468 ; 4-byte Folded Reload
	buffer_load_dword v13, off, s[24:27], 0 offset:472 ; 4-byte Folded Reload
	;; [unrolled: 1-line block ×4, first 2 shown]
	v_mul_f64 v[4:5], v[36:37], v[4:5]
	s_waitcnt vmcnt(2)
	v_fma_f64 v[0:1], v[4:5], v[12:13], v[0:1]
	v_mul_f64 v[4:5], v[39:40], v[2:3]
	buffer_store_dword v4, off, s[24:27], 0 offset:1204 ; 4-byte Folded Spill
	s_nop 0
	buffer_store_dword v5, off, s[24:27], 0 offset:1208 ; 4-byte Folded Spill
	v_mul_f64 v[4:5], v[8:9], v[4:5]
	s_waitcnt vmcnt(2)
	v_fma_f64 v[0:1], v[4:5], v[14:15], v[0:1]
	v_mul_f64 v[4:5], v[41:42], v[2:3]
	buffer_store_dword v4, off, s[24:27], 0 offset:1044 ; 4-byte Folded Spill
	s_nop 0
	buffer_store_dword v5, off, s[24:27], 0 offset:1048 ; 4-byte Folded Spill
	v_mul_f64 v[2:3], v[67:68], v[2:3]
	buffer_load_dword v12, off, s[24:27], 0 offset:484 ; 4-byte Folded Reload
	buffer_load_dword v13, off, s[24:27], 0 offset:488 ; 4-byte Folded Reload
	buffer_load_dword v14, off, s[24:27], 0 offset:492 ; 4-byte Folded Reload
	buffer_load_dword v15, off, s[24:27], 0 offset:496 ; 4-byte Folded Reload
	s_nop 0
	buffer_store_dword v2, off, s[24:27], 0 offset:1060 ; 4-byte Folded Spill
	s_nop 0
	buffer_store_dword v3, off, s[24:27], 0 offset:1064 ; 4-byte Folded Spill
	v_mul_f64 v[4:5], v[10:11], v[4:5]
	s_waitcnt vmcnt(4)
	v_fma_f64 v[0:1], v[4:5], v[12:13], v[0:1]
	v_mul_f64 v[2:3], v[16:17], v[2:3]
	s_waitcnt vmcnt(2)
	v_fma_f64 v[0:1], v[2:3], v[14:15], v[0:1]
	ds_read2_b64 v[2:5], v18 offset0:4 offset1:8
	s_waitcnt lgkmcnt(0)
	buffer_store_dword v2, off, s[24:27], 0 offset:596 ; 4-byte Folded Spill
	s_nop 0
	buffer_store_dword v3, off, s[24:27], 0 offset:600 ; 4-byte Folded Spill
	buffer_store_dword v4, off, s[24:27], 0 offset:604 ; 4-byte Folded Spill
	;; [unrolled: 1-line block ×3, first 2 shown]
	buffer_load_dword v12, off, s[24:27], s10 ; 4-byte Folded Reload
	buffer_load_dword v13, off, s[24:27], s10 offset:4 ; 4-byte Folded Reload
	buffer_load_dword v14, off, s[24:27], s10 offset:8 ; 4-byte Folded Reload
	buffer_load_dword v15, off, s[24:27], s10 offset:12 ; 4-byte Folded Reload
	s_mov_b32 s10, 0x46900
	s_waitcnt vmcnt(2)
	v_mul_f64 v[2:3], v[12:13], v[4:5]
	v_mul_f64 v[4:5], v[153:154], v[2:3]
	;; [unrolled: 1-line block ×4, first 2 shown]
	buffer_store_dword v6, off, s[24:27], 0 offset:1108 ; 4-byte Folded Spill
	s_nop 0
	buffer_store_dword v7, off, s[24:27], 0 offset:1112 ; 4-byte Folded Spill
	buffer_load_dword v21, off, s[24:27], 0 offset:500 ; 4-byte Folded Reload
	buffer_load_dword v22, off, s[24:27], 0 offset:504 ; 4-byte Folded Reload
	;; [unrolled: 1-line block ×4, first 2 shown]
	v_mul_f64 v[6:7], v[34:35], v[6:7]
	s_waitcnt vmcnt(2)
	v_fma_f64 v[0:1], v[21:22], v[6:7], v[0:1]
	v_mul_f64 v[6:7], v[30:31], v[4:5]
	buffer_store_dword v6, off, s[24:27], 0 offset:1124 ; 4-byte Folded Spill
	s_nop 0
	buffer_store_dword v7, off, s[24:27], 0 offset:1128 ; 4-byte Folded Spill
	v_mul_f64 v[6:7], v[36:37], v[6:7]
	s_waitcnt vmcnt(2)
	v_fma_f64 v[0:1], v[23:24], v[6:7], v[0:1]
	v_mul_f64 v[6:7], v[39:40], v[4:5]
	buffer_store_dword v6, off, s[24:27], 0 offset:1140 ; 4-byte Folded Spill
	s_nop 0
	buffer_store_dword v7, off, s[24:27], 0 offset:1144 ; 4-byte Folded Spill
	buffer_load_dword v21, off, s[24:27], 0 offset:516 ; 4-byte Folded Reload
	buffer_load_dword v22, off, s[24:27], 0 offset:520 ; 4-byte Folded Reload
	;; [unrolled: 1-line block ×4, first 2 shown]
	v_mul_f64 v[6:7], v[8:9], v[6:7]
	s_waitcnt vmcnt(2)
	v_fma_f64 v[0:1], v[21:22], v[6:7], v[0:1]
	v_mul_f64 v[6:7], v[41:42], v[4:5]
	buffer_store_dword v6, off, s[24:27], 0 offset:1156 ; 4-byte Folded Spill
	s_nop 0
	buffer_store_dword v7, off, s[24:27], 0 offset:1160 ; 4-byte Folded Spill
	v_mul_f64 v[4:5], v[67:68], v[4:5]
	buffer_store_dword v4, off, s[24:27], 0 offset:1172 ; 4-byte Folded Spill
	s_nop 0
	buffer_store_dword v5, off, s[24:27], 0 offset:1176 ; 4-byte Folded Spill
	buffer_load_dword v51, off, s[24:27], 0 offset:2468 ; 4-byte Folded Reload
	buffer_load_dword v52, off, s[24:27], 0 offset:2472 ; 4-byte Folded Reload
	;; [unrolled: 1-line block ×4, first 2 shown]
	v_mul_f64 v[6:7], v[10:11], v[6:7]
	s_waitcnt vmcnt(8)
	v_fma_f64 v[0:1], v[23:24], v[6:7], v[0:1]
	v_mul_f64 v[4:5], v[16:17], v[4:5]
	s_waitcnt vmcnt(2)
	v_fma_f64 v[0:1], v[4:5], v[51:52], v[0:1]
	v_mul_f64 v[4:5], v[155:156], v[2:3]
	v_mul_f64 v[4:5], v[36:37], v[4:5]
	;; [unrolled: 1-line block ×3, first 2 shown]
	buffer_store_dword v6, off, s[24:27], 0 offset:1348 ; 4-byte Folded Spill
	s_nop 0
	buffer_store_dword v7, off, s[24:27], 0 offset:1352 ; 4-byte Folded Spill
	v_mul_f64 v[6:7], v[34:35], v[6:7]
	s_waitcnt vmcnt(2)
	v_fma_f64 v[0:1], v[6:7], v[53:54], v[0:1]
	v_mul_f64 v[6:7], v[30:31], v[4:5]
	buffer_store_dword v6, off, s[24:27], 0 offset:1364 ; 4-byte Folded Spill
	s_nop 0
	buffer_store_dword v7, off, s[24:27], 0 offset:1368 ; 4-byte Folded Spill
	buffer_load_dword v21, off, s[24:27], 0 offset:532 ; 4-byte Folded Reload
	buffer_load_dword v22, off, s[24:27], 0 offset:536 ; 4-byte Folded Reload
	;; [unrolled: 1-line block ×4, first 2 shown]
	v_mul_f64 v[6:7], v[36:37], v[6:7]
	s_waitcnt vmcnt(2)
	v_fma_f64 v[0:1], v[6:7], v[21:22], v[0:1]
	v_mul_f64 v[6:7], v[39:40], v[4:5]
	buffer_store_dword v6, off, s[24:27], 0 offset:1220 ; 4-byte Folded Spill
	s_nop 0
	buffer_store_dword v7, off, s[24:27], 0 offset:1224 ; 4-byte Folded Spill
	v_mul_f64 v[6:7], v[8:9], v[6:7]
	s_waitcnt vmcnt(2)
	v_fma_f64 v[0:1], v[6:7], v[23:24], v[0:1]
	v_mul_f64 v[6:7], v[41:42], v[4:5]
	buffer_store_dword v6, off, s[24:27], 0 offset:1236 ; 4-byte Folded Spill
	s_nop 0
	buffer_store_dword v7, off, s[24:27], 0 offset:1240 ; 4-byte Folded Spill
	v_mul_f64 v[4:5], v[67:68], v[4:5]
	buffer_load_dword v21, off, s[24:27], 0 offset:548 ; 4-byte Folded Reload
	buffer_load_dword v22, off, s[24:27], 0 offset:552 ; 4-byte Folded Reload
	;; [unrolled: 1-line block ×4, first 2 shown]
	s_nop 0
	buffer_store_dword v4, off, s[24:27], 0 offset:1252 ; 4-byte Folded Spill
	s_nop 0
	buffer_store_dword v5, off, s[24:27], 0 offset:1256 ; 4-byte Folded Spill
	v_mul_f64 v[6:7], v[10:11], v[6:7]
	s_waitcnt vmcnt(4)
	v_fma_f64 v[0:1], v[6:7], v[21:22], v[0:1]
	v_mul_f64 v[4:5], v[16:17], v[4:5]
	s_waitcnt vmcnt(2)
	v_fma_f64 v[0:1], v[4:5], v[23:24], v[0:1]
	v_mul_f64 v[4:5], v[161:162], v[2:3]
	v_mul_f64 v[4:5], v[8:9], v[4:5]
	;; [unrolled: 1-line block ×3, first 2 shown]
	buffer_store_dword v6, off, s[24:27], 0 offset:1268 ; 4-byte Folded Spill
	s_nop 0
	buffer_store_dword v7, off, s[24:27], 0 offset:1272 ; 4-byte Folded Spill
	buffer_load_dword v21, off, s[24:27], 0 offset:2484 ; 4-byte Folded Reload
	buffer_load_dword v22, off, s[24:27], 0 offset:2488 ; 4-byte Folded Reload
	;; [unrolled: 1-line block ×4, first 2 shown]
	v_mul_f64 v[6:7], v[34:35], v[6:7]
	s_waitcnt vmcnt(2)
	v_fma_f64 v[0:1], v[6:7], v[21:22], v[0:1]
	v_mul_f64 v[6:7], v[30:31], v[4:5]
	buffer_store_dword v6, off, s[24:27], 0 offset:1284 ; 4-byte Folded Spill
	s_nop 0
	buffer_store_dword v7, off, s[24:27], 0 offset:1288 ; 4-byte Folded Spill
	v_mul_f64 v[6:7], v[36:37], v[6:7]
	s_waitcnt vmcnt(2)
	v_fma_f64 v[0:1], v[6:7], v[23:24], v[0:1]
	v_mul_f64 v[6:7], v[39:40], v[4:5]
	buffer_store_dword v6, off, s[24:27], 0 offset:1300 ; 4-byte Folded Spill
	s_nop 0
	buffer_store_dword v7, off, s[24:27], 0 offset:1304 ; 4-byte Folded Spill
	buffer_load_dword v21, off, s[24:27], 0 offset:2500 ; 4-byte Folded Reload
	buffer_load_dword v22, off, s[24:27], 0 offset:2504 ; 4-byte Folded Reload
	;; [unrolled: 1-line block ×4, first 2 shown]
	v_mul_f64 v[6:7], v[8:9], v[6:7]
	s_waitcnt vmcnt(2)
	v_fma_f64 v[0:1], v[6:7], v[21:22], v[0:1]
	v_mul_f64 v[6:7], v[41:42], v[4:5]
	buffer_store_dword v6, off, s[24:27], 0 offset:1316 ; 4-byte Folded Spill
	s_nop 0
	buffer_store_dword v7, off, s[24:27], 0 offset:1320 ; 4-byte Folded Spill
	v_mul_f64 v[4:5], v[67:68], v[4:5]
	buffer_store_dword v4, off, s[24:27], 0 offset:1332 ; 4-byte Folded Spill
	s_nop 0
	buffer_store_dword v5, off, s[24:27], 0 offset:1336 ; 4-byte Folded Spill
	buffer_load_dword v55, off, s[24:27], 0 offset:2516 ; 4-byte Folded Reload
	buffer_load_dword v56, off, s[24:27], 0 offset:2520 ; 4-byte Folded Reload
	;; [unrolled: 1-line block ×4, first 2 shown]
	v_mul_f64 v[6:7], v[10:11], v[6:7]
	s_waitcnt vmcnt(8)
	v_fma_f64 v[0:1], v[6:7], v[23:24], v[0:1]
	v_mul_f64 v[4:5], v[16:17], v[4:5]
	s_waitcnt vmcnt(2)
	v_fma_f64 v[0:1], v[4:5], v[55:56], v[0:1]
	v_mul_f64 v[4:5], v[163:164], v[2:3]
	v_mul_f64 v[2:3], v[19:20], v[2:3]
	;; [unrolled: 1-line block ×5, first 2 shown]
	buffer_store_dword v6, off, s[24:27], 0 offset:1508 ; 4-byte Folded Spill
	s_nop 0
	buffer_store_dword v7, off, s[24:27], 0 offset:1512 ; 4-byte Folded Spill
	v_mul_f64 v[6:7], v[34:35], v[6:7]
	s_waitcnt vmcnt(2)
	v_fma_f64 v[0:1], v[6:7], v[57:58], v[0:1]
	v_mul_f64 v[6:7], v[30:31], v[4:5]
	buffer_store_dword v6, off, s[24:27], 0 offset:1524 ; 4-byte Folded Spill
	s_nop 0
	buffer_store_dword v7, off, s[24:27], 0 offset:1528 ; 4-byte Folded Spill
	buffer_load_dword v221, off, s[24:27], s10 ; 4-byte Folded Reload
	buffer_load_dword v222, off, s[24:27], s10 offset:4 ; 4-byte Folded Reload
	buffer_load_dword v223, off, s[24:27], s10 offset:8 ; 4-byte Folded Reload
	;; [unrolled: 1-line block ×3, first 2 shown]
	s_mov_b32 s10, 0x46d00
	v_mul_f64 v[6:7], v[36:37], v[6:7]
	s_waitcnt vmcnt(2)
	v_fma_f64 v[0:1], v[6:7], v[221:222], v[0:1]
	v_mul_f64 v[6:7], v[39:40], v[4:5]
	buffer_store_dword v6, off, s[24:27], 0 offset:1380 ; 4-byte Folded Spill
	s_nop 0
	buffer_store_dword v7, off, s[24:27], 0 offset:1384 ; 4-byte Folded Spill
	v_mul_f64 v[6:7], v[8:9], v[6:7]
	s_waitcnt vmcnt(2)
	v_fma_f64 v[0:1], v[6:7], v[223:224], v[0:1]
	v_mul_f64 v[6:7], v[41:42], v[4:5]
	buffer_store_dword v6, off, s[24:27], 0 offset:1396 ; 4-byte Folded Spill
	s_nop 0
	buffer_store_dword v7, off, s[24:27], 0 offset:1400 ; 4-byte Folded Spill
	v_mul_f64 v[4:5], v[67:68], v[4:5]
	buffer_load_dword v213, off, s[24:27], s10 ; 4-byte Folded Reload
	buffer_load_dword v214, off, s[24:27], s10 offset:4 ; 4-byte Folded Reload
	buffer_load_dword v215, off, s[24:27], s10 offset:8 ; 4-byte Folded Reload
	;; [unrolled: 1-line block ×3, first 2 shown]
	s_nop 0
	buffer_store_dword v4, off, s[24:27], 0 offset:1412 ; 4-byte Folded Spill
	s_nop 0
	buffer_store_dword v5, off, s[24:27], 0 offset:1416 ; 4-byte Folded Spill
	s_mov_b32 s10, 0x47100
	v_mul_f64 v[6:7], v[10:11], v[6:7]
	s_waitcnt vmcnt(4)
	v_fma_f64 v[0:1], v[6:7], v[213:214], v[0:1]
	v_mul_f64 v[4:5], v[16:17], v[4:5]
	s_waitcnt vmcnt(2)
	v_fma_f64 v[0:1], v[4:5], v[215:216], v[0:1]
	v_mul_f64 v[4:5], v[28:29], v[2:3]
	buffer_store_dword v4, off, s[24:27], 0 offset:1428 ; 4-byte Folded Spill
	s_nop 0
	buffer_store_dword v5, off, s[24:27], 0 offset:1432 ; 4-byte Folded Spill
	buffer_load_dword v209, off, s[24:27], s10 ; 4-byte Folded Reload
	buffer_load_dword v210, off, s[24:27], s10 offset:4 ; 4-byte Folded Reload
	buffer_load_dword v211, off, s[24:27], s10 offset:8 ; 4-byte Folded Reload
	buffer_load_dword v212, off, s[24:27], s10 offset:12 ; 4-byte Folded Reload
	s_mov_b32 s10, 0x47500
	v_mul_f64 v[4:5], v[34:35], v[4:5]
	s_waitcnt vmcnt(2)
	v_fma_f64 v[0:1], v[4:5], v[209:210], v[0:1]
	v_mul_f64 v[4:5], v[30:31], v[2:3]
	buffer_store_dword v4, off, s[24:27], 0 offset:1444 ; 4-byte Folded Spill
	s_nop 0
	buffer_store_dword v5, off, s[24:27], 0 offset:1448 ; 4-byte Folded Spill
	v_mul_f64 v[4:5], v[36:37], v[4:5]
	s_waitcnt vmcnt(2)
	v_fma_f64 v[0:1], v[4:5], v[211:212], v[0:1]
	v_mul_f64 v[4:5], v[39:40], v[2:3]
	buffer_store_dword v4, off, s[24:27], 0 offset:1460 ; 4-byte Folded Spill
	s_nop 0
	buffer_store_dword v5, off, s[24:27], 0 offset:1464 ; 4-byte Folded Spill
	buffer_load_dword v205, off, s[24:27], s10 ; 4-byte Folded Reload
	buffer_load_dword v206, off, s[24:27], s10 offset:4 ; 4-byte Folded Reload
	buffer_load_dword v207, off, s[24:27], s10 offset:8 ; 4-byte Folded Reload
	;; [unrolled: 1-line block ×3, first 2 shown]
	s_mov_b32 s10, 0x47900
	v_mul_f64 v[4:5], v[8:9], v[4:5]
	s_waitcnt vmcnt(2)
	v_fma_f64 v[0:1], v[4:5], v[205:206], v[0:1]
	v_mul_f64 v[4:5], v[41:42], v[2:3]
	buffer_store_dword v4, off, s[24:27], 0 offset:1476 ; 4-byte Folded Spill
	s_nop 0
	buffer_store_dword v5, off, s[24:27], 0 offset:1480 ; 4-byte Folded Spill
	v_mul_f64 v[2:3], v[67:68], v[2:3]
	buffer_store_dword v2, off, s[24:27], 0 offset:1492 ; 4-byte Folded Spill
	s_nop 0
	buffer_store_dword v3, off, s[24:27], 0 offset:1496 ; 4-byte Folded Spill
	buffer_load_dword v201, off, s[24:27], s10 ; 4-byte Folded Reload
	buffer_load_dword v202, off, s[24:27], s10 offset:4 ; 4-byte Folded Reload
	buffer_load_dword v203, off, s[24:27], s10 offset:8 ; 4-byte Folded Reload
	;; [unrolled: 1-line block ×3, first 2 shown]
	s_mov_b32 s10, 0x42b00
	buffer_store_dword v18, off, s[24:27], s10 ; 4-byte Folded Spill
	s_mov_b32 s10, 0x47d00
	v_mul_f64 v[4:5], v[10:11], v[4:5]
	s_waitcnt vmcnt(9)
	v_fma_f64 v[0:1], v[4:5], v[207:208], v[0:1]
	v_mul_f64 v[2:3], v[16:17], v[2:3]
	s_waitcnt vmcnt(3)
	v_fma_f64 v[0:1], v[2:3], v[201:202], v[0:1]
	ds_read2_b64 v[2:5], v18 offset0:8 offset1:12
	s_waitcnt lgkmcnt(0)
	buffer_store_dword v2, off, s[24:27], 0 offset:580 ; 4-byte Folded Spill
	s_nop 0
	buffer_store_dword v3, off, s[24:27], 0 offset:584 ; 4-byte Folded Spill
	buffer_store_dword v4, off, s[24:27], 0 offset:588 ; 4-byte Folded Spill
	;; [unrolled: 1-line block ×3, first 2 shown]
	v_mul_f64 v[2:3], v[14:15], v[4:5]
	v_mul_f64 v[4:5], v[153:154], v[2:3]
	;; [unrolled: 1-line block ×4, first 2 shown]
	buffer_store_dword v6, off, s[24:27], 0 offset:1668 ; 4-byte Folded Spill
	s_nop 0
	buffer_store_dword v7, off, s[24:27], 0 offset:1672 ; 4-byte Folded Spill
	v_mul_f64 v[6:7], v[34:35], v[6:7]
	s_waitcnt vmcnt(7)
	v_fma_f64 v[0:1], v[203:204], v[6:7], v[0:1]
	v_mul_f64 v[6:7], v[30:31], v[4:5]
	buffer_store_dword v6, off, s[24:27], 0 offset:1684 ; 4-byte Folded Spill
	s_nop 0
	buffer_store_dword v7, off, s[24:27], 0 offset:1688 ; 4-byte Folded Spill
	buffer_load_dword v197, off, s[24:27], s10 ; 4-byte Folded Reload
	buffer_load_dword v198, off, s[24:27], s10 offset:4 ; 4-byte Folded Reload
	buffer_load_dword v199, off, s[24:27], s10 offset:8 ; 4-byte Folded Reload
	;; [unrolled: 1-line block ×3, first 2 shown]
	s_mov_b32 s10, 0x48100
	v_mul_f64 v[6:7], v[36:37], v[6:7]
	s_waitcnt vmcnt(2)
	v_fma_f64 v[0:1], v[197:198], v[6:7], v[0:1]
	v_mul_f64 v[6:7], v[39:40], v[4:5]
	buffer_store_dword v6, off, s[24:27], 0 offset:1540 ; 4-byte Folded Spill
	s_nop 0
	buffer_store_dword v7, off, s[24:27], 0 offset:1544 ; 4-byte Folded Spill
	v_mul_f64 v[6:7], v[8:9], v[6:7]
	s_waitcnt vmcnt(2)
	v_fma_f64 v[0:1], v[199:200], v[6:7], v[0:1]
	v_mul_f64 v[6:7], v[41:42], v[4:5]
	buffer_store_dword v6, off, s[24:27], 0 offset:1556 ; 4-byte Folded Spill
	s_nop 0
	buffer_store_dword v7, off, s[24:27], 0 offset:1560 ; 4-byte Folded Spill
	v_mul_f64 v[4:5], v[67:68], v[4:5]
	buffer_load_dword v193, off, s[24:27], s10 ; 4-byte Folded Reload
	buffer_load_dword v194, off, s[24:27], s10 offset:4 ; 4-byte Folded Reload
	buffer_load_dword v195, off, s[24:27], s10 offset:8 ; 4-byte Folded Reload
	;; [unrolled: 1-line block ×3, first 2 shown]
	s_nop 0
	buffer_store_dword v4, off, s[24:27], 0 offset:1572 ; 4-byte Folded Spill
	s_nop 0
	buffer_store_dword v5, off, s[24:27], 0 offset:1576 ; 4-byte Folded Spill
	s_mov_b32 s10, 0x48500
	v_mul_f64 v[6:7], v[10:11], v[6:7]
	s_waitcnt vmcnt(4)
	v_fma_f64 v[0:1], v[193:194], v[6:7], v[0:1]
	v_mul_f64 v[4:5], v[16:17], v[4:5]
	s_waitcnt vmcnt(2)
	v_fma_f64 v[0:1], v[4:5], v[195:196], v[0:1]
	v_mul_f64 v[4:5], v[155:156], v[2:3]
	v_mul_f64 v[4:5], v[36:37], v[4:5]
	;; [unrolled: 1-line block ×3, first 2 shown]
	buffer_store_dword v6, off, s[24:27], 0 offset:1588 ; 4-byte Folded Spill
	s_nop 0
	buffer_store_dword v7, off, s[24:27], 0 offset:1592 ; 4-byte Folded Spill
	buffer_load_dword v189, off, s[24:27], s10 ; 4-byte Folded Reload
	buffer_load_dword v190, off, s[24:27], s10 offset:4 ; 4-byte Folded Reload
	buffer_load_dword v191, off, s[24:27], s10 offset:8 ; 4-byte Folded Reload
	;; [unrolled: 1-line block ×3, first 2 shown]
	s_mov_b32 s10, 0x48900
	v_mul_f64 v[6:7], v[34:35], v[6:7]
	s_waitcnt vmcnt(2)
	v_fma_f64 v[0:1], v[6:7], v[189:190], v[0:1]
	v_mul_f64 v[6:7], v[30:31], v[4:5]
	buffer_store_dword v6, off, s[24:27], 0 offset:1604 ; 4-byte Folded Spill
	s_nop 0
	buffer_store_dword v7, off, s[24:27], 0 offset:1608 ; 4-byte Folded Spill
	v_mul_f64 v[6:7], v[36:37], v[6:7]
	s_waitcnt vmcnt(2)
	v_fma_f64 v[0:1], v[6:7], v[191:192], v[0:1]
	v_mul_f64 v[6:7], v[39:40], v[4:5]
	buffer_store_dword v6, off, s[24:27], 0 offset:1620 ; 4-byte Folded Spill
	s_nop 0
	buffer_store_dword v7, off, s[24:27], 0 offset:1624 ; 4-byte Folded Spill
	buffer_load_dword v185, off, s[24:27], s10 ; 4-byte Folded Reload
	buffer_load_dword v186, off, s[24:27], s10 offset:4 ; 4-byte Folded Reload
	buffer_load_dword v187, off, s[24:27], s10 offset:8 ; 4-byte Folded Reload
	;; [unrolled: 1-line block ×3, first 2 shown]
	s_mov_b32 s10, 0x48d00
	v_mul_f64 v[6:7], v[8:9], v[6:7]
	s_waitcnt vmcnt(2)
	v_fma_f64 v[0:1], v[6:7], v[185:186], v[0:1]
	v_mul_f64 v[6:7], v[41:42], v[4:5]
	buffer_store_dword v6, off, s[24:27], 0 offset:1636 ; 4-byte Folded Spill
	s_nop 0
	buffer_store_dword v7, off, s[24:27], 0 offset:1640 ; 4-byte Folded Spill
	v_mul_f64 v[4:5], v[67:68], v[4:5]
	buffer_store_dword v4, off, s[24:27], 0 offset:1652 ; 4-byte Folded Spill
	s_nop 0
	buffer_store_dword v5, off, s[24:27], 0 offset:1656 ; 4-byte Folded Spill
	buffer_load_dword v181, off, s[24:27], s10 ; 4-byte Folded Reload
	buffer_load_dword v182, off, s[24:27], s10 offset:4 ; 4-byte Folded Reload
	buffer_load_dword v183, off, s[24:27], s10 offset:8 ; 4-byte Folded Reload
	;; [unrolled: 1-line block ×3, first 2 shown]
	s_mov_b32 s10, 0x49100
	v_mul_f64 v[6:7], v[10:11], v[6:7]
	s_waitcnt vmcnt(8)
	v_fma_f64 v[0:1], v[6:7], v[187:188], v[0:1]
	v_mul_f64 v[4:5], v[16:17], v[4:5]
	s_waitcnt vmcnt(2)
	v_fma_f64 v[0:1], v[4:5], v[181:182], v[0:1]
	v_mul_f64 v[4:5], v[161:162], v[2:3]
	v_mul_f64 v[4:5], v[8:9], v[4:5]
	;; [unrolled: 1-line block ×3, first 2 shown]
	buffer_store_dword v6, off, s[24:27], 0 offset:1812 ; 4-byte Folded Spill
	s_nop 0
	buffer_store_dword v7, off, s[24:27], 0 offset:1816 ; 4-byte Folded Spill
	v_mul_f64 v[6:7], v[34:35], v[6:7]
	s_waitcnt vmcnt(2)
	v_fma_f64 v[0:1], v[6:7], v[183:184], v[0:1]
	v_mul_f64 v[6:7], v[30:31], v[4:5]
	buffer_store_dword v6, off, s[24:27], 0 offset:1828 ; 4-byte Folded Spill
	s_nop 0
	buffer_store_dword v7, off, s[24:27], 0 offset:1832 ; 4-byte Folded Spill
	buffer_load_dword v177, off, s[24:27], s10 ; 4-byte Folded Reload
	buffer_load_dword v178, off, s[24:27], s10 offset:4 ; 4-byte Folded Reload
	buffer_load_dword v179, off, s[24:27], s10 offset:8 ; 4-byte Folded Reload
	;; [unrolled: 1-line block ×3, first 2 shown]
	s_mov_b32 s10, 0x49500
	v_mul_f64 v[6:7], v[36:37], v[6:7]
	s_waitcnt vmcnt(2)
	v_fma_f64 v[0:1], v[6:7], v[177:178], v[0:1]
	v_mul_f64 v[6:7], v[39:40], v[4:5]
	buffer_store_dword v6, off, s[24:27], 0 offset:1700 ; 4-byte Folded Spill
	s_nop 0
	buffer_store_dword v7, off, s[24:27], 0 offset:1704 ; 4-byte Folded Spill
	v_mul_f64 v[6:7], v[8:9], v[6:7]
	s_waitcnt vmcnt(2)
	v_fma_f64 v[0:1], v[6:7], v[179:180], v[0:1]
	v_mul_f64 v[6:7], v[41:42], v[4:5]
	buffer_store_dword v6, off, s[24:27], 0 offset:1716 ; 4-byte Folded Spill
	s_nop 0
	buffer_store_dword v7, off, s[24:27], 0 offset:1720 ; 4-byte Folded Spill
	v_mul_f64 v[4:5], v[67:68], v[4:5]
	buffer_load_dword v173, off, s[24:27], s10 ; 4-byte Folded Reload
	buffer_load_dword v174, off, s[24:27], s10 offset:4 ; 4-byte Folded Reload
	buffer_load_dword v175, off, s[24:27], s10 offset:8 ; 4-byte Folded Reload
	;; [unrolled: 1-line block ×3, first 2 shown]
	s_nop 0
	buffer_store_dword v4, off, s[24:27], 0 offset:1732 ; 4-byte Folded Spill
	s_nop 0
	buffer_store_dword v5, off, s[24:27], 0 offset:1736 ; 4-byte Folded Spill
	s_mov_b32 s10, 0x49900
	v_mul_f64 v[6:7], v[10:11], v[6:7]
	s_waitcnt vmcnt(4)
	v_fma_f64 v[0:1], v[6:7], v[173:174], v[0:1]
	v_mul_f64 v[4:5], v[16:17], v[4:5]
	s_waitcnt vmcnt(2)
	v_fma_f64 v[0:1], v[4:5], v[175:176], v[0:1]
	v_mul_f64 v[4:5], v[163:164], v[2:3]
	v_mul_f64 v[2:3], v[19:20], v[2:3]
	;; [unrolled: 1-line block ×5, first 2 shown]
	buffer_store_dword v6, off, s[24:27], 0 offset:1748 ; 4-byte Folded Spill
	s_nop 0
	buffer_store_dword v7, off, s[24:27], 0 offset:1752 ; 4-byte Folded Spill
	buffer_load_dword v169, off, s[24:27], s10 ; 4-byte Folded Reload
	buffer_load_dword v170, off, s[24:27], s10 offset:4 ; 4-byte Folded Reload
	buffer_load_dword v171, off, s[24:27], s10 offset:8 ; 4-byte Folded Reload
	;; [unrolled: 1-line block ×3, first 2 shown]
	s_mov_b32 s10, 0x49d00
	v_mul_f64 v[6:7], v[34:35], v[6:7]
	s_waitcnt vmcnt(2)
	v_fma_f64 v[0:1], v[6:7], v[169:170], v[0:1]
	v_mul_f64 v[6:7], v[30:31], v[4:5]
	buffer_store_dword v6, off, s[24:27], 0 offset:1764 ; 4-byte Folded Spill
	s_nop 0
	buffer_store_dword v7, off, s[24:27], 0 offset:1768 ; 4-byte Folded Spill
	v_mul_f64 v[6:7], v[36:37], v[6:7]
	s_waitcnt vmcnt(2)
	v_fma_f64 v[0:1], v[6:7], v[171:172], v[0:1]
	v_mul_f64 v[6:7], v[39:40], v[4:5]
	buffer_store_dword v6, off, s[24:27], 0 offset:1780 ; 4-byte Folded Spill
	s_nop 0
	buffer_store_dword v7, off, s[24:27], 0 offset:1784 ; 4-byte Folded Spill
	buffer_load_dword v165, off, s[24:27], s10 ; 4-byte Folded Reload
	buffer_load_dword v166, off, s[24:27], s10 offset:4 ; 4-byte Folded Reload
	buffer_load_dword v167, off, s[24:27], s10 offset:8 ; 4-byte Folded Reload
	;; [unrolled: 1-line block ×3, first 2 shown]
	s_mov_b32 s10, 0x4a100
	v_mul_f64 v[6:7], v[8:9], v[6:7]
	s_waitcnt vmcnt(2)
	v_fma_f64 v[0:1], v[6:7], v[165:166], v[0:1]
	v_mul_f64 v[6:7], v[41:42], v[4:5]
	buffer_store_dword v6, off, s[24:27], 0 offset:1796 ; 4-byte Folded Spill
	s_nop 0
	buffer_store_dword v7, off, s[24:27], 0 offset:1800 ; 4-byte Folded Spill
	v_mul_f64 v[4:5], v[67:68], v[4:5]
	buffer_store_dword v4, off, s[24:27], 0 offset:1908 ; 4-byte Folded Spill
	s_nop 0
	buffer_store_dword v5, off, s[24:27], 0 offset:1912 ; 4-byte Folded Spill
	buffer_load_dword v157, off, s[24:27], s10 ; 4-byte Folded Reload
	buffer_load_dword v158, off, s[24:27], s10 offset:4 ; 4-byte Folded Reload
	buffer_load_dword v159, off, s[24:27], s10 offset:8 ; 4-byte Folded Reload
	;; [unrolled: 1-line block ×3, first 2 shown]
	s_mov_b32 s10, 0x4a500
	v_mul_f64 v[6:7], v[10:11], v[6:7]
	s_waitcnt vmcnt(8)
	v_fma_f64 v[0:1], v[6:7], v[167:168], v[0:1]
	v_mul_f64 v[4:5], v[16:17], v[4:5]
	s_waitcnt vmcnt(2)
	v_fma_f64 v[0:1], v[4:5], v[157:158], v[0:1]
	v_mul_f64 v[4:5], v[28:29], v[2:3]
	buffer_store_dword v4, off, s[24:27], 0 offset:1924 ; 4-byte Folded Spill
	s_nop 0
	buffer_store_dword v5, off, s[24:27], 0 offset:1928 ; 4-byte Folded Spill
	v_mul_f64 v[4:5], v[34:35], v[4:5]
	s_waitcnt vmcnt(2)
	v_fma_f64 v[0:1], v[4:5], v[159:160], v[0:1]
	v_mul_f64 v[4:5], v[30:31], v[2:3]
	buffer_store_dword v4, off, s[24:27], 0 offset:1844 ; 4-byte Folded Spill
	s_nop 0
	buffer_store_dword v5, off, s[24:27], 0 offset:1848 ; 4-byte Folded Spill
	buffer_load_dword v149, off, s[24:27], s10 ; 4-byte Folded Reload
	buffer_load_dword v150, off, s[24:27], s10 offset:4 ; 4-byte Folded Reload
	buffer_load_dword v151, off, s[24:27], s10 offset:8 ; 4-byte Folded Reload
	;; [unrolled: 1-line block ×3, first 2 shown]
	s_mov_b32 s10, 0x4a900
	v_mul_f64 v[4:5], v[36:37], v[4:5]
	s_waitcnt vmcnt(2)
	v_fma_f64 v[0:1], v[4:5], v[149:150], v[0:1]
	v_mul_f64 v[4:5], v[39:40], v[2:3]
	buffer_store_dword v4, off, s[24:27], 0 offset:1860 ; 4-byte Folded Spill
	s_nop 0
	buffer_store_dword v5, off, s[24:27], 0 offset:1864 ; 4-byte Folded Spill
	v_mul_f64 v[4:5], v[8:9], v[4:5]
	s_waitcnt vmcnt(2)
	v_fma_f64 v[0:1], v[4:5], v[151:152], v[0:1]
	v_mul_f64 v[4:5], v[41:42], v[2:3]
	buffer_store_dword v4, off, s[24:27], 0 offset:1876 ; 4-byte Folded Spill
	s_nop 0
	buffer_store_dword v5, off, s[24:27], 0 offset:1880 ; 4-byte Folded Spill
	v_mul_f64 v[2:3], v[67:68], v[2:3]
	buffer_load_dword v145, off, s[24:27], s10 ; 4-byte Folded Reload
	buffer_load_dword v146, off, s[24:27], s10 offset:4 ; 4-byte Folded Reload
	buffer_load_dword v147, off, s[24:27], s10 offset:8 ; 4-byte Folded Reload
	;; [unrolled: 1-line block ×3, first 2 shown]
	s_nop 0
	buffer_store_dword v2, off, s[24:27], 0 offset:1892 ; 4-byte Folded Spill
	s_nop 0
	buffer_store_dword v3, off, s[24:27], 0 offset:1896 ; 4-byte Folded Spill
	s_mov_b32 s10, 0x44700
	v_mul_f64 v[4:5], v[10:11], v[4:5]
	s_waitcnt vmcnt(4)
	v_fma_f64 v[0:1], v[4:5], v[145:146], v[0:1]
	v_mul_f64 v[2:3], v[16:17], v[2:3]
	s_waitcnt vmcnt(2)
	v_fma_f64 v[0:1], v[2:3], v[147:148], v[0:1]
	ds_read2_b64 v[2:5], v18 offset0:12 offset1:16
	s_waitcnt lgkmcnt(0)
	buffer_store_dword v2, off, s[24:27], 0 offset:564 ; 4-byte Folded Spill
	s_nop 0
	buffer_store_dword v3, off, s[24:27], 0 offset:568 ; 4-byte Folded Spill
	buffer_store_dword v4, off, s[24:27], 0 offset:572 ; 4-byte Folded Spill
	;; [unrolled: 1-line block ×3, first 2 shown]
	buffer_load_dword v2, off, s[24:27], s10 ; 4-byte Folded Reload
	s_nop 0
	buffer_load_dword v3, off, s[24:27], s10 offset:4 ; 4-byte Folded Reload
	s_mov_b32 s10, 0x4ad00
	s_waitcnt vmcnt(0)
	v_mul_f64 v[2:3], v[2:3], v[4:5]
	v_mul_f64 v[4:5], v[153:154], v[2:3]
	;; [unrolled: 1-line block ×4, first 2 shown]
	buffer_store_dword v6, off, s[24:27], 0 offset:2036 ; 4-byte Folded Spill
	s_nop 0
	buffer_store_dword v7, off, s[24:27], 0 offset:2040 ; 4-byte Folded Spill
	buffer_load_dword v141, off, s[24:27], s10 ; 4-byte Folded Reload
	buffer_load_dword v142, off, s[24:27], s10 offset:4 ; 4-byte Folded Reload
	buffer_load_dword v143, off, s[24:27], s10 offset:8 ; 4-byte Folded Reload
	;; [unrolled: 1-line block ×3, first 2 shown]
	s_mov_b32 s10, 0x4b100
	v_mul_f64 v[6:7], v[34:35], v[6:7]
	s_waitcnt vmcnt(2)
	v_fma_f64 v[0:1], v[141:142], v[6:7], v[0:1]
	v_mul_f64 v[6:7], v[30:31], v[4:5]
	buffer_store_dword v6, off, s[24:27], 0 offset:2052 ; 4-byte Folded Spill
	s_nop 0
	buffer_store_dword v7, off, s[24:27], 0 offset:2056 ; 4-byte Folded Spill
	v_mul_f64 v[6:7], v[36:37], v[6:7]
	s_waitcnt vmcnt(2)
	v_fma_f64 v[0:1], v[143:144], v[6:7], v[0:1]
	v_mul_f64 v[6:7], v[39:40], v[4:5]
	buffer_store_dword v6, off, s[24:27], 0 offset:1940 ; 4-byte Folded Spill
	s_nop 0
	buffer_store_dword v7, off, s[24:27], 0 offset:1944 ; 4-byte Folded Spill
	buffer_load_dword v137, off, s[24:27], s10 ; 4-byte Folded Reload
	buffer_load_dword v138, off, s[24:27], s10 offset:4 ; 4-byte Folded Reload
	buffer_load_dword v139, off, s[24:27], s10 offset:8 ; 4-byte Folded Reload
	;; [unrolled: 1-line block ×3, first 2 shown]
	s_mov_b32 s10, 0x4b500
	v_mul_f64 v[6:7], v[8:9], v[6:7]
	s_waitcnt vmcnt(2)
	v_fma_f64 v[0:1], v[137:138], v[6:7], v[0:1]
	v_mul_f64 v[6:7], v[41:42], v[4:5]
	buffer_store_dword v6, off, s[24:27], 0 offset:1956 ; 4-byte Folded Spill
	s_nop 0
	buffer_store_dword v7, off, s[24:27], 0 offset:1960 ; 4-byte Folded Spill
	v_mul_f64 v[4:5], v[67:68], v[4:5]
	buffer_store_dword v4, off, s[24:27], 0 offset:1972 ; 4-byte Folded Spill
	s_nop 0
	buffer_store_dword v5, off, s[24:27], 0 offset:1976 ; 4-byte Folded Spill
	buffer_load_dword v133, off, s[24:27], s10 ; 4-byte Folded Reload
	buffer_load_dword v134, off, s[24:27], s10 offset:4 ; 4-byte Folded Reload
	buffer_load_dword v135, off, s[24:27], s10 offset:8 ; 4-byte Folded Reload
	;; [unrolled: 1-line block ×3, first 2 shown]
	s_mov_b32 s10, 0x4b900
	v_mul_f64 v[6:7], v[10:11], v[6:7]
	s_waitcnt vmcnt(8)
	v_fma_f64 v[0:1], v[139:140], v[6:7], v[0:1]
	v_mul_f64 v[4:5], v[16:17], v[4:5]
	s_waitcnt vmcnt(2)
	v_fma_f64 v[0:1], v[4:5], v[133:134], v[0:1]
	v_mul_f64 v[4:5], v[155:156], v[2:3]
	v_mul_f64 v[4:5], v[36:37], v[4:5]
	;; [unrolled: 1-line block ×3, first 2 shown]
	buffer_store_dword v6, off, s[24:27], 0 offset:1988 ; 4-byte Folded Spill
	s_nop 0
	buffer_store_dword v7, off, s[24:27], 0 offset:1992 ; 4-byte Folded Spill
	v_mul_f64 v[6:7], v[34:35], v[6:7]
	s_waitcnt vmcnt(2)
	v_fma_f64 v[0:1], v[6:7], v[135:136], v[0:1]
	v_mul_f64 v[6:7], v[30:31], v[4:5]
	buffer_store_dword v6, off, s[24:27], 0 offset:2004 ; 4-byte Folded Spill
	s_nop 0
	buffer_store_dword v7, off, s[24:27], 0 offset:2008 ; 4-byte Folded Spill
	buffer_load_dword v129, off, s[24:27], s10 ; 4-byte Folded Reload
	buffer_load_dword v130, off, s[24:27], s10 offset:4 ; 4-byte Folded Reload
	buffer_load_dword v131, off, s[24:27], s10 offset:8 ; 4-byte Folded Reload
	;; [unrolled: 1-line block ×3, first 2 shown]
	s_mov_b32 s10, 0x4bd00
	v_mul_f64 v[6:7], v[36:37], v[6:7]
	s_waitcnt vmcnt(2)
	v_fma_f64 v[0:1], v[6:7], v[129:130], v[0:1]
	v_mul_f64 v[6:7], v[39:40], v[4:5]
	buffer_store_dword v6, off, s[24:27], 0 offset:2020 ; 4-byte Folded Spill
	s_nop 0
	buffer_store_dword v7, off, s[24:27], 0 offset:2024 ; 4-byte Folded Spill
	v_mul_f64 v[6:7], v[8:9], v[6:7]
	s_waitcnt vmcnt(2)
	v_fma_f64 v[0:1], v[6:7], v[131:132], v[0:1]
	v_mul_f64 v[6:7], v[41:42], v[4:5]
	buffer_store_dword v6, off, s[24:27], 0 offset:2148 ; 4-byte Folded Spill
	s_nop 0
	buffer_store_dword v7, off, s[24:27], 0 offset:2152 ; 4-byte Folded Spill
	v_mul_f64 v[4:5], v[67:68], v[4:5]
	buffer_load_dword v125, off, s[24:27], s10 ; 4-byte Folded Reload
	buffer_load_dword v126, off, s[24:27], s10 offset:4 ; 4-byte Folded Reload
	buffer_load_dword v127, off, s[24:27], s10 offset:8 ; 4-byte Folded Reload
	;; [unrolled: 1-line block ×3, first 2 shown]
	s_nop 0
	buffer_store_dword v4, off, s[24:27], 0 offset:2164 ; 4-byte Folded Spill
	s_nop 0
	buffer_store_dword v5, off, s[24:27], 0 offset:2168 ; 4-byte Folded Spill
	s_mov_b32 s10, 0x4c100
	v_mul_f64 v[6:7], v[10:11], v[6:7]
	s_waitcnt vmcnt(4)
	v_fma_f64 v[0:1], v[6:7], v[125:126], v[0:1]
	v_mul_f64 v[4:5], v[16:17], v[4:5]
	s_waitcnt vmcnt(2)
	v_fma_f64 v[0:1], v[4:5], v[127:128], v[0:1]
	v_mul_f64 v[4:5], v[161:162], v[2:3]
	v_mul_f64 v[4:5], v[8:9], v[4:5]
	;; [unrolled: 1-line block ×3, first 2 shown]
	buffer_store_dword v6, off, s[24:27], 0 offset:2068 ; 4-byte Folded Spill
	s_nop 0
	buffer_store_dword v7, off, s[24:27], 0 offset:2072 ; 4-byte Folded Spill
	buffer_load_dword v121, off, s[24:27], s10 ; 4-byte Folded Reload
	buffer_load_dword v122, off, s[24:27], s10 offset:4 ; 4-byte Folded Reload
	buffer_load_dword v123, off, s[24:27], s10 offset:8 ; 4-byte Folded Reload
	;; [unrolled: 1-line block ×3, first 2 shown]
	s_mov_b32 s10, 0x4c500
	v_mul_f64 v[6:7], v[34:35], v[6:7]
	s_waitcnt vmcnt(2)
	v_fma_f64 v[0:1], v[6:7], v[121:122], v[0:1]
	v_mul_f64 v[6:7], v[30:31], v[4:5]
	buffer_store_dword v6, off, s[24:27], 0 offset:2084 ; 4-byte Folded Spill
	s_nop 0
	buffer_store_dword v7, off, s[24:27], 0 offset:2088 ; 4-byte Folded Spill
	v_mul_f64 v[6:7], v[36:37], v[6:7]
	s_waitcnt vmcnt(2)
	v_fma_f64 v[0:1], v[6:7], v[123:124], v[0:1]
	v_mul_f64 v[6:7], v[39:40], v[4:5]
	buffer_store_dword v6, off, s[24:27], 0 offset:2100 ; 4-byte Folded Spill
	s_nop 0
	buffer_store_dword v7, off, s[24:27], 0 offset:2104 ; 4-byte Folded Spill
	buffer_load_dword v117, off, s[24:27], s10 ; 4-byte Folded Reload
	buffer_load_dword v118, off, s[24:27], s10 offset:4 ; 4-byte Folded Reload
	buffer_load_dword v119, off, s[24:27], s10 offset:8 ; 4-byte Folded Reload
	;; [unrolled: 1-line block ×3, first 2 shown]
	s_mov_b32 s10, 0x4c900
	v_mul_f64 v[6:7], v[8:9], v[6:7]
	s_waitcnt vmcnt(2)
	v_fma_f64 v[0:1], v[6:7], v[117:118], v[0:1]
	v_mul_f64 v[6:7], v[41:42], v[4:5]
	buffer_store_dword v6, off, s[24:27], 0 offset:2116 ; 4-byte Folded Spill
	s_nop 0
	buffer_store_dword v7, off, s[24:27], 0 offset:2120 ; 4-byte Folded Spill
	v_mul_f64 v[4:5], v[67:68], v[4:5]
	buffer_store_dword v4, off, s[24:27], 0 offset:2132 ; 4-byte Folded Spill
	s_nop 0
	buffer_store_dword v5, off, s[24:27], 0 offset:2136 ; 4-byte Folded Spill
	buffer_load_dword v113, off, s[24:27], s10 ; 4-byte Folded Reload
	buffer_load_dword v114, off, s[24:27], s10 offset:4 ; 4-byte Folded Reload
	buffer_load_dword v115, off, s[24:27], s10 offset:8 ; 4-byte Folded Reload
	buffer_load_dword v116, off, s[24:27], s10 offset:12 ; 4-byte Folded Reload
	s_mov_b32 s10, 0x4cd00
	v_mul_f64 v[6:7], v[10:11], v[6:7]
	s_waitcnt vmcnt(8)
	v_fma_f64 v[0:1], v[6:7], v[119:120], v[0:1]
	v_mul_f64 v[4:5], v[16:17], v[4:5]
	s_waitcnt vmcnt(2)
	v_fma_f64 v[0:1], v[4:5], v[113:114], v[0:1]
	v_mul_f64 v[4:5], v[163:164], v[2:3]
	v_mul_f64 v[4:5], v[10:11], v[4:5]
	;; [unrolled: 1-line block ×3, first 2 shown]
	buffer_store_dword v6, off, s[24:27], 0 offset:2260 ; 4-byte Folded Spill
	s_nop 0
	buffer_store_dword v7, off, s[24:27], 0 offset:2264 ; 4-byte Folded Spill
	v_mul_f64 v[237:238], v[30:31], v[4:5]
	v_mul_f64 v[6:7], v[34:35], v[6:7]
	s_waitcnt vmcnt(2)
	v_fma_f64 v[0:1], v[6:7], v[115:116], v[0:1]
	v_mul_f64 v[6:7], v[36:37], v[237:238]
	buffer_store_dword v237, off, s[24:27], 0 offset:2844 ; 4-byte Folded Spill
	s_nop 0
	buffer_store_dword v238, off, s[24:27], 0 offset:2848 ; 4-byte Folded Spill
	buffer_load_dword v229, off, s[24:27], s10 ; 4-byte Folded Reload
	buffer_load_dword v230, off, s[24:27], s10 offset:4 ; 4-byte Folded Reload
	buffer_load_dword v231, off, s[24:27], s10 offset:8 ; 4-byte Folded Reload
	;; [unrolled: 1-line block ×3, first 2 shown]
	s_mov_b32 s10, 0x4d100
	s_waitcnt vmcnt(2)
	v_fma_f64 v[0:1], v[6:7], v[229:230], v[0:1]
	v_mul_f64 v[6:7], v[39:40], v[4:5]
	buffer_store_dword v6, off, s[24:27], 0 offset:2180 ; 4-byte Folded Spill
	s_nop 0
	buffer_store_dword v7, off, s[24:27], 0 offset:2184 ; 4-byte Folded Spill
	v_mul_f64 v[6:7], v[8:9], v[6:7]
	s_waitcnt vmcnt(2)
	v_fma_f64 v[0:1], v[6:7], v[231:232], v[0:1]
	v_mul_f64 v[6:7], v[41:42], v[4:5]
	buffer_store_dword v6, off, s[24:27], 0 offset:2196 ; 4-byte Folded Spill
	s_nop 0
	buffer_store_dword v7, off, s[24:27], 0 offset:2200 ; 4-byte Folded Spill
	v_mul_f64 v[4:5], v[67:68], v[4:5]
	buffer_load_dword v243, off, s[24:27], s10 ; 4-byte Folded Reload
	buffer_load_dword v244, off, s[24:27], s10 offset:4 ; 4-byte Folded Reload
	buffer_load_dword v245, off, s[24:27], s10 offset:8 ; 4-byte Folded Reload
	;; [unrolled: 1-line block ×3, first 2 shown]
	s_nop 0
	buffer_store_dword v4, off, s[24:27], 0 offset:2276 ; 4-byte Folded Spill
	s_nop 0
	buffer_store_dword v5, off, s[24:27], 0 offset:2280 ; 4-byte Folded Spill
	s_mov_b32 s10, 0x4d500
	v_mul_f64 v[22:23], v[10:11], v[6:7]
	s_waitcnt vmcnt(4)
	v_fma_f64 v[0:1], v[22:23], v[243:244], v[0:1]
	v_mul_f64 v[22:23], v[16:17], v[4:5]
	s_waitcnt vmcnt(2)
	v_fma_f64 v[22:23], v[22:23], v[245:246], v[0:1]
	v_mul_f64 v[0:1], v[19:20], v[2:3]
	v_mul_f64 v[2:3], v[16:17], v[0:1]
	;; [unrolled: 1-line block ×3, first 2 shown]
	buffer_store_dword v0, off, s[24:27], 0 offset:2244 ; 4-byte Folded Spill
	s_nop 0
	buffer_store_dword v1, off, s[24:27], 0 offset:2248 ; 4-byte Folded Spill
	buffer_load_dword v247, off, s[24:27], s10 ; 4-byte Folded Reload
	buffer_load_dword v248, off, s[24:27], s10 offset:4 ; 4-byte Folded Reload
	buffer_load_dword v249, off, s[24:27], s10 offset:8 ; 4-byte Folded Reload
	;; [unrolled: 1-line block ×3, first 2 shown]
	s_mov_b32 s10, 0x4d900
	v_mul_f64 v[71:72], v[34:35], v[0:1]
	v_mul_f64 v[0:1], v[30:31], v[2:3]
	buffer_store_dword v0, off, s[24:27], 0 offset:2876 ; 4-byte Folded Spill
	s_nop 0
	buffer_store_dword v1, off, s[24:27], 0 offset:2880 ; 4-byte Folded Spill
	s_waitcnt vmcnt(4)
	v_fma_f64 v[22:23], v[71:72], v[247:248], v[22:23]
	v_mul_f64 v[24:25], v[36:37], v[0:1]
	v_mul_f64 v[0:1], v[39:40], v[2:3]
	buffer_store_dword v0, off, s[24:27], 0 offset:2892 ; 4-byte Folded Spill
	s_nop 0
	buffer_store_dword v1, off, s[24:27], 0 offset:2896 ; 4-byte Folded Spill
	buffer_load_dword v251, off, s[24:27], s10 ; 4-byte Folded Reload
	buffer_load_dword v252, off, s[24:27], s10 offset:4 ; 4-byte Folded Reload
	buffer_load_dword v253, off, s[24:27], s10 offset:8 ; 4-byte Folded Reload
	;; [unrolled: 1-line block ×3, first 2 shown]
	s_waitcnt vmcnt(8)
	v_fma_f64 v[22:23], v[24:25], v[249:250], v[22:23]
	s_mov_b32 s10, 0x4e100
	v_mul_f64 v[35:36], v[8:9], v[0:1]
	v_mul_f64 v[0:1], v[41:42], v[2:3]
	buffer_store_dword v0, off, s[24:27], 0 offset:2908 ; 4-byte Folded Spill
	s_nop 0
	buffer_store_dword v1, off, s[24:27], 0 offset:2912 ; 4-byte Folded Spill
	s_waitcnt vmcnt(4)
	v_fma_f64 v[22:23], v[35:36], v[251:252], v[22:23]
	v_mul_f64 v[37:38], v[10:11], v[0:1]
	v_mul_f64 v[0:1], v[67:68], v[2:3]
	buffer_store_dword v0, off, s[24:27], 0 offset:2924 ; 4-byte Folded Spill
	s_nop 0
	buffer_store_dword v1, off, s[24:27], 0 offset:2928 ; 4-byte Folded Spill
	s_waitcnt vmcnt(4)
	v_fma_f64 v[22:23], v[37:38], v[253:254], v[22:23]
	v_mul_f64 v[37:38], v[16:17], v[0:1]
	v_fma_f64 v[22:23], v[37:38], v[61:62], v[22:23]
	global_store_dwordx2 v[109:110], v[22:23], off
	buffer_load_dword v239, off, s[24:27], s10 ; 4-byte Folded Reload
	buffer_load_dword v240, off, s[24:27], s10 offset:4 ; 4-byte Folded Reload
	buffer_load_dword v241, off, s[24:27], s10 offset:8 ; 4-byte Folded Reload
	;; [unrolled: 1-line block ×3, first 2 shown]
	s_mov_b32 s10, 0x4e900
	s_waitcnt vmcnt(0)
	v_mul_f64 v[22:23], v[241:242], v[69:70]
	buffer_load_dword v69, off, s[24:27], s10 ; 4-byte Folded Reload
	buffer_load_dword v70, off, s[24:27], s10 offset:4 ; 4-byte Folded Reload
	buffer_load_dword v71, off, s[24:27], s10 offset:8 ; 4-byte Folded Reload
	;; [unrolled: 1-line block ×5, first 2 shown]
	s_mov_b32 s10, 0x4f100
	v_fma_f64 v[22:23], v[59:60], v[22:23], 0
	s_waitcnt vmcnt(0)
	v_mul_f64 v[37:38], v[71:72], v[0:1]
	buffer_load_dword v59, off, s[24:27], s10 ; 4-byte Folded Reload
	buffer_load_dword v60, off, s[24:27], s10 offset:4 ; 4-byte Folded Reload
	buffer_load_dword v61, off, s[24:27], s10 offset:8 ; 4-byte Folded Reload
	;; [unrolled: 1-line block ×5, first 2 shown]
	s_mov_b32 s10, 0x4f900
	v_fma_f64 v[22:23], v[235:236], v[37:38], v[22:23]
	s_waitcnt vmcnt(0)
	v_mul_f64 v[37:38], v[61:62], v[0:1]
	v_fma_f64 v[22:23], v[65:66], v[37:38], v[22:23]
	buffer_load_dword v63, off, s[24:27], s10 ; 4-byte Folded Reload
	buffer_load_dword v64, off, s[24:27], s10 offset:4 ; 4-byte Folded Reload
	buffer_load_dword v65, off, s[24:27], s10 offset:8 ; 4-byte Folded Reload
	;; [unrolled: 1-line block ×3, first 2 shown]
	s_mov_b32 s10, 0x4dd00
	s_waitcnt vmcnt(0)
	v_mul_f64 v[37:38], v[65:66], v[75:76]
	v_fma_f64 v[22:23], v[233:234], v[37:38], v[22:23]
	buffer_load_dword v233, off, s[24:27], s10 ; 4-byte Folded Reload
	buffer_load_dword v234, off, s[24:27], s10 offset:4 ; 4-byte Folded Reload
	buffer_load_dword v235, off, s[24:27], s10 offset:8 ; 4-byte Folded Reload
	;; [unrolled: 1-line block ×13, first 2 shown]
	s_mov_b32 s10, 0x43800
	s_waitcnt vmcnt(10)
	v_mul_f64 v[37:38], v[235:236], v[79:80]
	s_waitcnt vmcnt(6)
	v_fma_f64 v[22:23], v[37:38], v[2:3], v[22:23]
	v_mul_f64 v[37:38], v[241:242], v[83:84]
	buffer_load_dword v2, off, s[24:27], 0 offset:100 ; 4-byte Folded Reload
	buffer_load_dword v3, off, s[24:27], 0 offset:104 ; 4-byte Folded Reload
	;; [unrolled: 1-line block ×4, first 2 shown]
	s_waitcnt vmcnt(6)
	v_fma_f64 v[22:23], v[37:38], v[6:7], v[22:23]
	s_waitcnt vmcnt(4)
	v_mul_f64 v[37:38], v[71:72], v[0:1]
	buffer_load_dword v0, off, s[24:27], 0 offset:612 ; 4-byte Folded Reload
	buffer_load_dword v1, off, s[24:27], 0 offset:616 ; 4-byte Folded Reload
	buffer_load_dword v8, off, s[24:27], 0 offset:116 ; 4-byte Folded Reload
	buffer_load_dword v9, off, s[24:27], 0 offset:120 ; 4-byte Folded Reload
	buffer_load_dword v10, off, s[24:27], 0 offset:124 ; 4-byte Folded Reload
	buffer_load_dword v11, off, s[24:27], 0 offset:128 ; 4-byte Folded Reload
	s_waitcnt vmcnt(6)
	v_fma_f64 v[22:23], v[37:38], v[4:5], v[22:23]
	s_waitcnt vmcnt(4)
	v_mul_f64 v[37:38], v[61:62], v[0:1]
	buffer_load_dword v0, off, s[24:27], 0 offset:628 ; 4-byte Folded Reload
	buffer_load_dword v1, off, s[24:27], 0 offset:632 ; 4-byte Folded Reload
	;; [unrolled: 1-line block ×6, first 2 shown]
	s_waitcnt vmcnt(2)
	v_mov_b32_e32 v12, v43
	v_mov_b32_e32 v13, v44
	;; [unrolled: 1-line block ×4, first 2 shown]
	v_fma_f64 v[22:23], v[37:38], v[10:11], v[22:23]
	v_mul_f64 v[37:38], v[65:66], v[0:1]
	buffer_load_dword v0, off, s[24:27], 0 offset:644 ; 4-byte Folded Reload
	buffer_load_dword v1, off, s[24:27], 0 offset:648 ; 4-byte Folded Reload
	;; [unrolled: 1-line block ×8, first 2 shown]
	s_waitcnt vmcnt(8)
	v_fma_f64 v[22:23], v[37:38], v[16:17], v[22:23]
	s_waitcnt vmcnt(6)
	v_mul_f64 v[37:38], v[235:236], v[0:1]
	buffer_load_dword v0, off, s[24:27], 0 offset:148 ; 4-byte Folded Reload
	buffer_load_dword v1, off, s[24:27], 0 offset:152 ; 4-byte Folded Reload
	;; [unrolled: 1-line block ×4, first 2 shown]
	s_waitcnt vmcnt(6)
	v_fma_f64 v[22:23], v[37:38], v[111:112], v[22:23]
	s_waitcnt vmcnt(4)
	v_mul_f64 v[37:38], v[241:242], v[8:9]
	s_waitcnt vmcnt(0)
	v_fma_f64 v[22:23], v[37:38], v[2:3], v[22:23]
	v_mul_f64 v[37:38], v[71:72], v[26:27]
	buffer_load_dword v24, off, s[24:27], 0 offset:2324 ; 4-byte Folded Reload
	buffer_load_dword v25, off, s[24:27], 0 offset:2328 ; 4-byte Folded Reload
	;; [unrolled: 1-line block ×4, first 2 shown]
	s_waitcnt vmcnt(0)
	v_fma_f64 v[22:23], v[37:38], v[26:27], v[22:23]
	v_mul_f64 v[37:38], v[61:62], v[73:74]
	buffer_load_dword v73, off, s[24:27], 0 offset:164 ; 4-byte Folded Reload
	buffer_load_dword v74, off, s[24:27], 0 offset:168 ; 4-byte Folded Reload
	;; [unrolled: 1-line block ×4, first 2 shown]
	s_waitcnt vmcnt(2)
	v_mov_b32_e32 v73, v81
	v_mov_b32_e32 v74, v82
	s_waitcnt vmcnt(0)
	v_fma_f64 v[22:23], v[37:38], v[75:76], v[22:23]
	v_mul_f64 v[37:38], v[65:66], v[77:78]
	buffer_load_dword v77, off, s[24:27], 0 offset:180 ; 4-byte Folded Reload
	buffer_load_dword v78, off, s[24:27], 0 offset:184 ; 4-byte Folded Reload
	;; [unrolled: 1-line block ×4, first 2 shown]
	s_waitcnt vmcnt(2)
	v_mov_b32_e32 v77, v89
	v_mov_b32_e32 v78, v90
	s_waitcnt vmcnt(0)
	v_fma_f64 v[22:23], v[37:38], v[79:80], v[22:23]
	v_mul_f64 v[37:38], v[235:236], v[81:82]
	buffer_load_dword v81, off, s[24:27], 0 offset:196 ; 4-byte Folded Reload
	buffer_load_dword v82, off, s[24:27], 0 offset:200 ; 4-byte Folded Reload
	;; [unrolled: 1-line block ×6, first 2 shown]
	s_waitcnt vmcnt(4)
	v_mov_b32_e32 v82, v33
	v_mov_b32_e32 v81, v32
	s_waitcnt vmcnt(2)
	v_fma_f64 v[22:23], v[37:38], v[83:84], v[22:23]
	s_waitcnt vmcnt(0)
	v_mul_f64 v[37:38], v[241:242], v[8:9]
	v_fma_f64 v[22:23], v[37:38], v[219:220], v[22:23]
	v_mul_f64 v[37:38], v[71:72], v[89:90]
	v_fma_f64 v[22:23], v[37:38], v[87:88], v[22:23]
	buffer_load_dword v87, off, s[24:27], 0 offset:212 ; 4-byte Folded Reload
	buffer_load_dword v88, off, s[24:27], 0 offset:216 ; 4-byte Folded Reload
	;; [unrolled: 1-line block ×4, first 2 shown]
	v_mul_f64 v[37:38], v[61:62], v[91:92]
	s_waitcnt vmcnt(0)
	v_fma_f64 v[22:23], v[37:38], v[89:90], v[22:23]
	v_mul_f64 v[37:38], v[65:66], v[32:33]
	buffer_load_dword v32, off, s[24:27], 0 offset:228 ; 4-byte Folded Reload
	buffer_load_dword v33, off, s[24:27], 0 offset:232 ; 4-byte Folded Reload
	;; [unrolled: 1-line block ×10, first 2 shown]
	s_waitcnt vmcnt(2)
	v_mov_b32_e32 v85, v99
	v_mov_b32_e32 v86, v100
	v_fma_f64 v[22:23], v[37:38], v[34:35], v[22:23]
	v_mul_f64 v[37:38], v[235:236], v[8:9]
	s_waitcnt vmcnt(0)
	v_fma_f64 v[22:23], v[37:38], v[87:88], v[22:23]
	v_mul_f64 v[37:38], v[241:242], v[93:94]
	buffer_load_dword v93, off, s[24:27], 0 offset:2388 ; 4-byte Folded Reload
	buffer_load_dword v94, off, s[24:27], 0 offset:2392 ; 4-byte Folded Reload
	;; [unrolled: 1-line block ×10, first 2 shown]
	v_fma_f64 v[22:23], v[37:38], v[97:98], v[22:23]
	v_mul_f64 v[37:38], v[71:72], v[99:100]
	s_waitcnt vmcnt(6)
	v_fma_f64 v[22:23], v[37:38], v[95:96], v[22:23]
	s_waitcnt vmcnt(4)
	v_mul_f64 v[37:38], v[61:62], v[8:9]
	buffer_load_dword v8, off, s[24:27], 0 offset:708 ; 4-byte Folded Reload
	buffer_load_dword v9, off, s[24:27], 0 offset:712 ; 4-byte Folded Reload
	;; [unrolled: 1-line block ×6, first 2 shown]
	s_waitcnt vmcnt(2)
	v_mov_b32_e32 v97, v103
	v_mov_b32_e32 v98, v104
	v_fma_f64 v[22:23], v[37:38], v[34:35], v[22:23]
	v_mul_f64 v[37:38], v[65:66], v[8:9]
	buffer_load_dword v8, off, s[24:27], 0 offset:724 ; 4-byte Folded Reload
	buffer_load_dword v9, off, s[24:27], 0 offset:728 ; 4-byte Folded Reload
	;; [unrolled: 1-line block ×6, first 2 shown]
	s_waitcnt vmcnt(6)
	v_fma_f64 v[22:23], v[37:38], v[99:100], v[22:23]
	s_waitcnt vmcnt(4)
	v_mul_f64 v[37:38], v[235:236], v[8:9]
	s_waitcnt vmcnt(0)
	v_fma_f64 v[22:23], v[37:38], v[34:35], v[22:23]
	buffer_load_dword v32, off, s[24:27], 0 offset:308 ; 4-byte Folded Reload
	buffer_load_dword v33, off, s[24:27], 0 offset:312 ; 4-byte Folded Reload
	;; [unrolled: 1-line block ×6, first 2 shown]
	v_mul_f64 v[37:38], v[241:242], v[101:102]
	v_fma_f64 v[22:23], v[227:228], v[37:38], v[22:23]
	v_mul_f64 v[37:38], v[71:72], v[103:104]
	buffer_load_dword v101, off, s[24:27], 0 offset:324 ; 4-byte Folded Reload
	buffer_load_dword v102, off, s[24:27], 0 offset:328 ; 4-byte Folded Reload
	;; [unrolled: 1-line block ×4, first 2 shown]
	s_waitcnt vmcnt(6)
	v_fma_f64 v[22:23], v[34:35], v[37:38], v[22:23]
	s_waitcnt vmcnt(4)
	v_mul_f64 v[37:38], v[61:62], v[8:9]
	buffer_load_dword v8, off, s[24:27], 0 offset:756 ; 4-byte Folded Reload
	buffer_load_dword v9, off, s[24:27], 0 offset:760 ; 4-byte Folded Reload
	;; [unrolled: 1-line block ×6, first 2 shown]
	s_waitcnt vmcnt(6)
	v_fma_f64 v[22:23], v[103:104], v[37:38], v[22:23]
	s_waitcnt vmcnt(4)
	v_mul_f64 v[37:38], v[65:66], v[8:9]
	buffer_load_dword v8, off, s[24:27], 0 offset:772 ; 4-byte Folded Reload
	buffer_load_dword v9, off, s[24:27], 0 offset:776 ; 4-byte Folded Reload
	s_waitcnt vmcnt(2)
	v_fma_f64 v[22:23], v[34:35], v[37:38], v[22:23]
	buffer_load_dword v32, off, s[24:27], 0 offset:356 ; 4-byte Folded Reload
	buffer_load_dword v33, off, s[24:27], 0 offset:360 ; 4-byte Folded Reload
	;; [unrolled: 1-line block ×4, first 2 shown]
	s_waitcnt vmcnt(4)
	v_mul_f64 v[37:38], v[235:236], v[8:9]
	buffer_load_dword v8, off, s[24:27], 0 offset:804 ; 4-byte Folded Reload
	buffer_load_dword v9, off, s[24:27], 0 offset:808 ; 4-byte Folded Reload
	s_waitcnt vmcnt(2)
	v_fma_f64 v[22:23], v[37:38], v[34:35], v[22:23]
	s_waitcnt vmcnt(0)
	v_mul_f64 v[37:38], v[241:242], v[8:9]
	buffer_load_dword v8, off, s[24:27], 0 offset:820 ; 4-byte Folded Reload
	buffer_load_dword v9, off, s[24:27], 0 offset:824 ; 4-byte Folded Reload
	v_fma_f64 v[22:23], v[37:38], v[107:108], v[22:23]
	buffer_load_dword v105, off, s[24:27], 0 offset:372 ; 4-byte Folded Reload
	buffer_load_dword v106, off, s[24:27], 0 offset:376 ; 4-byte Folded Reload
	;; [unrolled: 1-line block ×4, first 2 shown]
	s_waitcnt vmcnt(4)
	v_mul_f64 v[37:38], v[71:72], v[8:9]
	buffer_load_dword v8, off, s[24:27], 0 offset:836 ; 4-byte Folded Reload
	buffer_load_dword v9, off, s[24:27], 0 offset:840 ; 4-byte Folded Reload
	;; [unrolled: 1-line block ×6, first 2 shown]
	s_waitcnt vmcnt(6)
	v_fma_f64 v[22:23], v[37:38], v[107:108], v[22:23]
	s_waitcnt vmcnt(4)
	v_mul_f64 v[37:38], v[61:62], v[8:9]
	buffer_load_dword v8, off, s[24:27], 0 offset:852 ; 4-byte Folded Reload
	buffer_load_dword v9, off, s[24:27], 0 offset:856 ; 4-byte Folded Reload
	s_waitcnt vmcnt(2)
	v_fma_f64 v[22:23], v[37:38], v[34:35], v[22:23]
	buffer_load_dword v32, off, s[24:27], 0 offset:404 ; 4-byte Folded Reload
	buffer_load_dword v33, off, s[24:27], 0 offset:408 ; 4-byte Folded Reload
	;; [unrolled: 1-line block ×4, first 2 shown]
	s_waitcnt vmcnt(4)
	v_mul_f64 v[37:38], v[65:66], v[8:9]
	buffer_load_dword v8, off, s[24:27], 0 offset:868 ; 4-byte Folded Reload
	buffer_load_dword v9, off, s[24:27], 0 offset:872 ; 4-byte Folded Reload
	s_waitcnt vmcnt(2)
	v_fma_f64 v[22:23], v[37:38], v[34:35], v[22:23]
	s_waitcnt vmcnt(0)
	v_mul_f64 v[37:38], v[235:236], v[8:9]
	buffer_load_dword v8, off, s[24:27], 0 offset:900 ; 4-byte Folded Reload
	buffer_load_dword v9, off, s[24:27], 0 offset:904 ; 4-byte Folded Reload
	v_fma_f64 v[22:23], v[37:38], v[12:13], v[22:23]
	s_waitcnt vmcnt(0)
	v_mul_f64 v[37:38], v[241:242], v[8:9]
	buffer_load_dword v8, off, s[24:27], 0 offset:996 ; 4-byte Folded Reload
	buffer_load_dword v9, off, s[24:27], 0 offset:1000 ; 4-byte Folded Reload
	;; [unrolled: 1-line block ×6, first 2 shown]
	v_fma_f64 v[22:23], v[37:38], v[14:15], v[22:23]
	s_waitcnt vmcnt(4)
	v_mul_f64 v[37:38], v[71:72], v[8:9]
	buffer_load_dword v8, off, s[24:27], 0 offset:1012 ; 4-byte Folded Reload
	buffer_load_dword v9, off, s[24:27], 0 offset:1016 ; 4-byte Folded Reload
	s_waitcnt vmcnt(4)
	v_fma_f64 v[22:23], v[37:38], v[18:19], v[22:23]
	s_waitcnt vmcnt(0)
	v_mul_f64 v[37:38], v[61:62], v[8:9]
	buffer_load_dword v8, off, s[24:27], 0 offset:1028 ; 4-byte Folded Reload
	buffer_load_dword v9, off, s[24:27], 0 offset:1032 ; 4-byte Folded Reload
	;; [unrolled: 1-line block ×6, first 2 shown]
	v_fma_f64 v[22:23], v[37:38], v[20:21], v[22:23]
	s_waitcnt vmcnt(4)
	v_mul_f64 v[37:38], v[65:66], v[8:9]
	buffer_load_dword v8, off, s[24:27], 0 offset:916 ; 4-byte Folded Reload
	buffer_load_dword v9, off, s[24:27], 0 offset:920 ; 4-byte Folded Reload
	s_waitcnt vmcnt(4)
	v_fma_f64 v[22:23], v[37:38], v[0:1], v[22:23]
	s_waitcnt vmcnt(0)
	v_mul_f64 v[37:38], v[235:236], v[8:9]
	buffer_load_dword v8, off, s[24:27], 0 offset:1076 ; 4-byte Folded Reload
	buffer_load_dword v9, off, s[24:27], 0 offset:1080 ; 4-byte Folded Reload
	v_fma_f64 v[22:23], v[37:38], v[2:3], v[22:23]
	buffer_load_dword v0, off, s[24:27], 0 offset:436 ; 4-byte Folded Reload
	buffer_load_dword v1, off, s[24:27], 0 offset:440 ; 4-byte Folded Reload
	;; [unrolled: 1-line block ×4, first 2 shown]
	s_waitcnt vmcnt(4)
	v_mul_f64 v[37:38], v[241:242], v[8:9]
	buffer_load_dword v8, off, s[24:27], 0 offset:932 ; 4-byte Folded Reload
	buffer_load_dword v9, off, s[24:27], 0 offset:936 ; 4-byte Folded Reload
	s_waitcnt vmcnt(4)
	v_fma_f64 v[22:23], v[37:38], v[0:1], v[22:23]
	s_waitcnt vmcnt(0)
	v_mul_f64 v[37:38], v[71:72], v[8:9]
	buffer_load_dword v8, off, s[24:27], 0 offset:948 ; 4-byte Folded Reload
	buffer_load_dword v9, off, s[24:27], 0 offset:952 ; 4-byte Folded Reload
	v_fma_f64 v[22:23], v[37:38], v[2:3], v[22:23]
	buffer_load_dword v0, off, s[24:27], 0 offset:452 ; 4-byte Folded Reload
	buffer_load_dword v1, off, s[24:27], 0 offset:456 ; 4-byte Folded Reload
	;; [unrolled: 1-line block ×4, first 2 shown]
	s_waitcnt vmcnt(4)
	v_mul_f64 v[37:38], v[61:62], v[8:9]
	buffer_load_dword v8, off, s[24:27], 0 offset:964 ; 4-byte Folded Reload
	buffer_load_dword v9, off, s[24:27], 0 offset:968 ; 4-byte Folded Reload
	s_waitcnt vmcnt(4)
	v_fma_f64 v[22:23], v[37:38], v[0:1], v[22:23]
	s_waitcnt vmcnt(0)
	v_mul_f64 v[37:38], v[65:66], v[8:9]
	buffer_load_dword v8, off, s[24:27], 0 offset:980 ; 4-byte Folded Reload
	buffer_load_dword v9, off, s[24:27], 0 offset:984 ; 4-byte Folded Reload
	v_fma_f64 v[22:23], v[37:38], v[2:3], v[22:23]
	s_waitcnt vmcnt(0)
	v_mul_f64 v[37:38], v[235:236], v[8:9]
	buffer_load_dword v8, off, s[24:27], 0 offset:1092 ; 4-byte Folded Reload
	buffer_load_dword v9, off, s[24:27], 0 offset:1096 ; 4-byte Folded Reload
	;; [unrolled: 5-line block ×3, first 2 shown]
	buffer_load_dword v0, off, s[24:27], 0 offset:468 ; 4-byte Folded Reload
	buffer_load_dword v1, off, s[24:27], 0 offset:472 ; 4-byte Folded Reload
	;; [unrolled: 1-line block ×4, first 2 shown]
	v_fma_f64 v[22:23], v[37:38], v[49:50], v[22:23]
	s_waitcnt vmcnt(4)
	v_mul_f64 v[37:38], v[71:72], v[8:9]
	buffer_load_dword v8, off, s[24:27], 0 offset:1204 ; 4-byte Folded Reload
	buffer_load_dword v9, off, s[24:27], 0 offset:1208 ; 4-byte Folded Reload
	s_waitcnt vmcnt(4)
	v_fma_f64 v[22:23], v[37:38], v[0:1], v[22:23]
	s_waitcnt vmcnt(0)
	v_mul_f64 v[37:38], v[61:62], v[8:9]
	buffer_load_dword v8, off, s[24:27], 0 offset:1044 ; 4-byte Folded Reload
	buffer_load_dword v9, off, s[24:27], 0 offset:1048 ; 4-byte Folded Reload
	v_fma_f64 v[22:23], v[37:38], v[2:3], v[22:23]
	buffer_load_dword v0, off, s[24:27], 0 offset:484 ; 4-byte Folded Reload
	buffer_load_dword v1, off, s[24:27], 0 offset:488 ; 4-byte Folded Reload
	buffer_load_dword v2, off, s[24:27], 0 offset:492 ; 4-byte Folded Reload
	buffer_load_dword v3, off, s[24:27], 0 offset:496 ; 4-byte Folded Reload
	s_waitcnt vmcnt(4)
	v_mul_f64 v[37:38], v[65:66], v[8:9]
	buffer_load_dword v8, off, s[24:27], 0 offset:1060 ; 4-byte Folded Reload
	buffer_load_dword v9, off, s[24:27], 0 offset:1064 ; 4-byte Folded Reload
	s_waitcnt vmcnt(4)
	v_fma_f64 v[22:23], v[37:38], v[0:1], v[22:23]
	s_waitcnt vmcnt(0)
	v_mul_f64 v[37:38], v[235:236], v[8:9]
	buffer_load_dword v8, off, s[24:27], 0 offset:1108 ; 4-byte Folded Reload
	buffer_load_dword v9, off, s[24:27], 0 offset:1112 ; 4-byte Folded Reload
	v_fma_f64 v[22:23], v[37:38], v[2:3], v[22:23]
	buffer_load_dword v0, off, s[24:27], 0 offset:500 ; 4-byte Folded Reload
	buffer_load_dword v1, off, s[24:27], 0 offset:504 ; 4-byte Folded Reload
	buffer_load_dword v2, off, s[24:27], 0 offset:508 ; 4-byte Folded Reload
	buffer_load_dword v3, off, s[24:27], 0 offset:512 ; 4-byte Folded Reload
	;; [unrolled: 15-line block ×3, first 2 shown]
	s_waitcnt vmcnt(4)
	v_mul_f64 v[37:38], v[61:62], v[8:9]
	buffer_load_dword v8, off, s[24:27], 0 offset:1156 ; 4-byte Folded Reload
	buffer_load_dword v9, off, s[24:27], 0 offset:1160 ; 4-byte Folded Reload
	s_waitcnt vmcnt(4)
	v_fma_f64 v[22:23], v[0:1], v[37:38], v[22:23]
	s_waitcnt vmcnt(0)
	v_mul_f64 v[37:38], v[65:66], v[8:9]
	buffer_load_dword v8, off, s[24:27], 0 offset:1172 ; 4-byte Folded Reload
	buffer_load_dword v9, off, s[24:27], 0 offset:1176 ; 4-byte Folded Reload
	v_fma_f64 v[22:23], v[2:3], v[37:38], v[22:23]
	s_waitcnt vmcnt(0)
	v_mul_f64 v[37:38], v[235:236], v[8:9]
	buffer_load_dword v8, off, s[24:27], 0 offset:1348 ; 4-byte Folded Reload
	buffer_load_dword v9, off, s[24:27], 0 offset:1352 ; 4-byte Folded Reload
	;; [unrolled: 5-line block ×3, first 2 shown]
	buffer_load_dword v0, off, s[24:27], 0 offset:532 ; 4-byte Folded Reload
	buffer_load_dword v1, off, s[24:27], 0 offset:536 ; 4-byte Folded Reload
	;; [unrolled: 1-line block ×4, first 2 shown]
	v_fma_f64 v[22:23], v[37:38], v[53:54], v[22:23]
	s_waitcnt vmcnt(4)
	v_mul_f64 v[37:38], v[71:72], v[8:9]
	buffer_load_dword v8, off, s[24:27], 0 offset:1220 ; 4-byte Folded Reload
	buffer_load_dword v9, off, s[24:27], 0 offset:1224 ; 4-byte Folded Reload
	s_waitcnt vmcnt(4)
	v_fma_f64 v[22:23], v[37:38], v[0:1], v[22:23]
	s_waitcnt vmcnt(0)
	v_mul_f64 v[37:38], v[61:62], v[8:9]
	buffer_load_dword v8, off, s[24:27], 0 offset:1236 ; 4-byte Folded Reload
	buffer_load_dword v9, off, s[24:27], 0 offset:1240 ; 4-byte Folded Reload
	v_fma_f64 v[22:23], v[37:38], v[2:3], v[22:23]
	buffer_load_dword v0, off, s[24:27], 0 offset:548 ; 4-byte Folded Reload
	buffer_load_dword v1, off, s[24:27], 0 offset:552 ; 4-byte Folded Reload
	;; [unrolled: 1-line block ×4, first 2 shown]
	s_waitcnt vmcnt(4)
	v_mul_f64 v[37:38], v[65:66], v[8:9]
	buffer_load_dword v8, off, s[24:27], 0 offset:1252 ; 4-byte Folded Reload
	buffer_load_dword v9, off, s[24:27], 0 offset:1256 ; 4-byte Folded Reload
	s_waitcnt vmcnt(4)
	v_fma_f64 v[22:23], v[37:38], v[0:1], v[22:23]
	s_waitcnt vmcnt(0)
	v_mul_f64 v[37:38], v[235:236], v[8:9]
	buffer_load_dword v8, off, s[24:27], 0 offset:1268 ; 4-byte Folded Reload
	buffer_load_dword v9, off, s[24:27], 0 offset:1272 ; 4-byte Folded Reload
	;; [unrolled: 1-line block ×6, first 2 shown]
	v_fma_f64 v[22:23], v[37:38], v[2:3], v[22:23]
	s_waitcnt vmcnt(4)
	v_mul_f64 v[37:38], v[241:242], v[8:9]
	buffer_load_dword v8, off, s[24:27], 0 offset:1284 ; 4-byte Folded Reload
	buffer_load_dword v9, off, s[24:27], 0 offset:1288 ; 4-byte Folded Reload
	s_waitcnt vmcnt(4)
	v_fma_f64 v[22:23], v[37:38], v[217:218], v[22:23]
	s_waitcnt vmcnt(0)
	v_mul_f64 v[37:38], v[71:72], v[8:9]
	buffer_load_dword v8, off, s[24:27], 0 offset:1300 ; 4-byte Folded Reload
	buffer_load_dword v9, off, s[24:27], 0 offset:1304 ; 4-byte Folded Reload
	;; [unrolled: 1-line block ×6, first 2 shown]
	v_fma_f64 v[22:23], v[37:38], v[219:220], v[22:23]
	s_waitcnt vmcnt(4)
	v_mul_f64 v[37:38], v[61:62], v[8:9]
	buffer_load_dword v8, off, s[24:27], 0 offset:1316 ; 4-byte Folded Reload
	buffer_load_dword v9, off, s[24:27], 0 offset:1320 ; 4-byte Folded Reload
	s_waitcnt vmcnt(4)
	v_fma_f64 v[22:23], v[37:38], v[225:226], v[22:23]
	s_waitcnt vmcnt(0)
	v_mul_f64 v[37:38], v[65:66], v[8:9]
	buffer_load_dword v8, off, s[24:27], 0 offset:1332 ; 4-byte Folded Reload
	buffer_load_dword v9, off, s[24:27], 0 offset:1336 ; 4-byte Folded Reload
	v_fma_f64 v[22:23], v[37:38], v[227:228], v[22:23]
	s_waitcnt vmcnt(0)
	v_mul_f64 v[37:38], v[235:236], v[8:9]
	buffer_load_dword v8, off, s[24:27], 0 offset:1508 ; 4-byte Folded Reload
	buffer_load_dword v9, off, s[24:27], 0 offset:1512 ; 4-byte Folded Reload
	;; [unrolled: 5-line block ×51, first 2 shown]
	buffer_load_dword v0, off, s[24:27], 0 offset:2260 ; 4-byte Folded Reload
	buffer_load_dword v1, off, s[24:27], 0 offset:2264 ; 4-byte Folded Reload
	v_fma_f64 v[22:23], v[37:38], v[119:120], v[22:23]
	s_waitcnt vmcnt(2)
	v_mul_f64 v[37:38], v[235:236], v[8:9]
	buffer_load_dword v8, off, s[24:27], 0 offset:2180 ; 4-byte Folded Reload
	buffer_load_dword v9, off, s[24:27], 0 offset:2184 ; 4-byte Folded Reload
	v_fma_f64 v[22:23], v[37:38], v[113:114], v[22:23]
	s_waitcnt vmcnt(2)
	v_mul_f64 v[37:38], v[241:242], v[0:1]
	v_fma_f64 v[22:23], v[37:38], v[115:116], v[22:23]
	v_mul_f64 v[37:38], v[71:72], v[237:238]
	v_fma_f64 v[22:23], v[37:38], v[229:230], v[22:23]
	s_waitcnt vmcnt(0)
	v_mul_f64 v[37:38], v[61:62], v[8:9]
	buffer_load_dword v8, off, s[24:27], 0 offset:2196 ; 4-byte Folded Reload
	buffer_load_dword v9, off, s[24:27], 0 offset:2200 ; 4-byte Folded Reload
	;; [unrolled: 1-line block ×4, first 2 shown]
	v_fma_f64 v[22:23], v[37:38], v[231:232], v[22:23]
	s_waitcnt vmcnt(2)
	v_mul_f64 v[37:38], v[65:66], v[8:9]
	buffer_load_dword v8, off, s[24:27], 0 offset:2244 ; 4-byte Folded Reload
	buffer_load_dword v9, off, s[24:27], 0 offset:2248 ; 4-byte Folded Reload
	v_fma_f64 v[22:23], v[37:38], v[243:244], v[22:23]
	s_waitcnt vmcnt(2)
	v_mul_f64 v[37:38], v[235:236], v[0:1]
	v_fma_f64 v[22:23], v[37:38], v[245:246], v[22:23]
	s_waitcnt vmcnt(0)
	v_mul_f64 v[37:38], v[241:242], v[8:9]
	buffer_load_dword v241, off, s[24:27], 0 offset:2876 ; 4-byte Folded Reload
	buffer_load_dword v242, off, s[24:27], 0 offset:2880 ; 4-byte Folded Reload
	v_fma_f64 v[22:23], v[37:38], v[247:248], v[22:23]
	s_waitcnt vmcnt(0)
	v_mul_f64 v[37:38], v[71:72], v[241:242]
	buffer_load_dword v71, off, s[24:27], 0 offset:2892 ; 4-byte Folded Reload
	buffer_load_dword v72, off, s[24:27], 0 offset:2896 ; 4-byte Folded Reload
	;; [unrolled: 5-line block ×4, first 2 shown]
	buffer_load_dword v43, off, s[24:27], 0 offset:20 ; 4-byte Folded Reload
	buffer_load_dword v44, off, s[24:27], 0 offset:24 ; 4-byte Folded Reload
	;; [unrolled: 1-line block ×6, first 2 shown]
	v_fma_f64 v[22:23], v[37:38], v[253:254], v[22:23]
	s_waitcnt vmcnt(6)
	v_mul_f64 v[37:38], v[235:236], v[65:66]
	s_waitcnt vmcnt(1)
	v_add_co_u32_e32 v8, vcc, s3, v0
	s_waitcnt vmcnt(0)
	v_addc_co_u32_e32 v9, vcc, 0, v1, vcc
	buffer_store_dword v8, off, s[24:27], s10 ; 4-byte Folded Spill
	s_nop 0
	buffer_store_dword v9, off, s[24:27], s10 offset:4 ; 4-byte Folded Spill
	v_add_co_u32_e32 v8, vcc, s7, v0
	v_addc_co_u32_e32 v9, vcc, 0, v1, vcc
	buffer_store_dword v8, off, s[24:27], 0 offset:2804 ; 4-byte Folded Spill
	s_nop 0
	buffer_store_dword v9, off, s[24:27], 0 offset:2808 ; 4-byte Folded Spill
	v_fma_f64 v[22:23], v[37:38], v[45:46], v[22:23]
	s_mov_b32 s10, 0x4e500
	global_store_dwordx2 v[8:9], v[22:23], off offset:-4096
	buffer_load_dword v32, off, s[24:27], s10 ; 4-byte Folded Reload
	buffer_load_dword v33, off, s[24:27], s10 offset:4 ; 4-byte Folded Reload
	buffer_load_dword v34, off, s[24:27], s10 offset:8 ; 4-byte Folded Reload
	;; [unrolled: 1-line block ×5, first 2 shown]
	s_mov_b32 s10, 0x4ed00
	s_waitcnt vmcnt(0)
	v_mul_f64 v[22:23], v[32:33], v[0:1]
	v_fma_f64 v[22:23], v[43:44], v[22:23], 0
	buffer_load_dword v43, off, s[24:27], s10 ; 4-byte Folded Reload
	buffer_load_dword v44, off, s[24:27], s10 offset:4 ; 4-byte Folded Reload
	buffer_load_dword v45, off, s[24:27], s10 offset:8 ; 4-byte Folded Reload
	buffer_load_dword v46, off, s[24:27], s10 offset:12 ; 4-byte Folded Reload
	buffer_load_dword v8, off, s[24:27], 0 offset:884 ; 4-byte Folded Reload
	buffer_load_dword v9, off, s[24:27], 0 offset:888 ; 4-byte Folded Reload
	buffer_load_dword v47, off, s[24:27], 0 offset:36 ; 4-byte Folded Reload
	buffer_load_dword v48, off, s[24:27], 0 offset:40 ; 4-byte Folded Reload
	buffer_load_dword v49, off, s[24:27], 0 offset:44 ; 4-byte Folded Reload
	buffer_load_dword v50, off, s[24:27], 0 offset:48 ; 4-byte Folded Reload
	s_mov_b32 s10, 0x4f500
	s_waitcnt vmcnt(4)
	v_mul_f64 v[37:38], v[43:44], v[8:9]
	s_waitcnt vmcnt(0)
	v_fma_f64 v[22:23], v[49:50], v[37:38], v[22:23]
	buffer_load_dword v47, off, s[24:27], s10 ; 4-byte Folded Reload
	buffer_load_dword v48, off, s[24:27], s10 offset:4 ; 4-byte Folded Reload
	buffer_load_dword v49, off, s[24:27], s10 offset:8 ; 4-byte Folded Reload
	buffer_load_dword v50, off, s[24:27], s10 offset:12 ; 4-byte Folded Reload
	buffer_load_dword v8, off, s[24:27], 0 offset:2228 ; 4-byte Folded Reload
	buffer_load_dword v9, off, s[24:27], 0 offset:2232 ; 4-byte Folded Reload
	buffer_load_dword v51, off, s[24:27], 0 offset:52 ; 4-byte Folded Reload
	buffer_load_dword v52, off, s[24:27], 0 offset:56 ; 4-byte Folded Reload
	buffer_load_dword v53, off, s[24:27], 0 offset:60 ; 4-byte Folded Reload
	buffer_load_dword v54, off, s[24:27], 0 offset:64 ; 4-byte Folded Reload
	s_mov_b32 s10, 0x4fd00
	s_waitcnt vmcnt(4)
	v_mul_f64 v[37:38], v[47:48], v[8:9]
	s_waitcnt vmcnt(0)
	v_fma_f64 v[22:23], v[53:54], v[37:38], v[22:23]
	buffer_load_dword v51, off, s[24:27], s10 ; 4-byte Folded Reload
	buffer_load_dword v52, off, s[24:27], s10 offset:4 ; 4-byte Folded Reload
	buffer_load_dword v53, off, s[24:27], s10 offset:8 ; 4-byte Folded Reload
	buffer_load_dword v54, off, s[24:27], s10 offset:12 ; 4-byte Folded Reload
	buffer_load_dword v0, off, s[24:27], 0 offset:2724 ; 4-byte Folded Reload
	buffer_load_dword v1, off, s[24:27], 0 offset:2728 ; 4-byte Folded Reload
	buffer_load_dword v55, off, s[24:27], 0 offset:68 ; 4-byte Folded Reload
	buffer_load_dword v56, off, s[24:27], 0 offset:72 ; 4-byte Folded Reload
	buffer_load_dword v57, off, s[24:27], 0 offset:76 ; 4-byte Folded Reload
	buffer_load_dword v58, off, s[24:27], 0 offset:80 ; 4-byte Folded Reload
	s_mov_b32 s10, 0x50100
	s_waitcnt vmcnt(4)
	v_mul_f64 v[37:38], v[51:52], v[0:1]
	s_waitcnt vmcnt(0)
	v_fma_f64 v[22:23], v[57:58], v[37:38], v[22:23]
	buffer_load_dword v55, off, s[24:27], s10 ; 4-byte Folded Reload
	buffer_load_dword v56, off, s[24:27], s10 offset:4 ; 4-byte Folded Reload
	buffer_load_dword v57, off, s[24:27], s10 offset:8 ; 4-byte Folded Reload
	;; [unrolled: 1-line block ×9, first 2 shown]
	s_mov_b32 s10, 0x43c00
	s_waitcnt vmcnt(4)
	v_mul_f64 v[37:38], v[55:56], v[0:1]
	buffer_load_dword v0, off, s[24:27], 0 offset:2772 ; 4-byte Folded Reload
	buffer_load_dword v1, off, s[24:27], 0 offset:2776 ; 4-byte Folded Reload
	;; [unrolled: 1-line block ×4, first 2 shown]
	s_waitcnt vmcnt(4)
	v_fma_f64 v[22:23], v[37:38], v[237:238], v[22:23]
	s_waitcnt vmcnt(2)
	v_mul_f64 v[37:38], v[32:33], v[0:1]
	v_fma_f64 v[22:23], v[37:38], v[6:7], v[22:23]
	s_waitcnt vmcnt(0)
	v_mul_f64 v[37:38], v[43:44], v[8:9]
	v_fma_f64 v[22:23], v[37:38], v[4:5], v[22:23]
	buffer_load_dword v4, off, s[24:27], 0 offset:612 ; 4-byte Folded Reload
	buffer_load_dword v5, off, s[24:27], 0 offset:616 ; 4-byte Folded Reload
	s_waitcnt vmcnt(0)
	v_mul_f64 v[37:38], v[47:48], v[4:5]
	buffer_load_dword v4, off, s[24:27], 0 offset:628 ; 4-byte Folded Reload
	buffer_load_dword v5, off, s[24:27], 0 offset:632 ; 4-byte Folded Reload
	v_fma_f64 v[22:23], v[37:38], v[10:11], v[22:23]
	s_waitcnt vmcnt(0)
	v_mul_f64 v[37:38], v[51:52], v[4:5]
	buffer_load_dword v4, off, s[24:27], 0 offset:644 ; 4-byte Folded Reload
	buffer_load_dword v5, off, s[24:27], 0 offset:648 ; 4-byte Folded Reload
	;; [unrolled: 1-line block ×8, first 2 shown]
	v_fma_f64 v[22:23], v[37:38], v[16:17], v[22:23]
	s_waitcnt vmcnt(6)
	v_mul_f64 v[37:38], v[55:56], v[4:5]
	v_fma_f64 v[22:23], v[37:38], v[111:112], v[22:23]
	s_waitcnt vmcnt(4)
	v_mul_f64 v[37:38], v[32:33], v[0:1]
	buffer_load_dword v0, off, s[24:27], 0 offset:2788 ; 4-byte Folded Reload
	buffer_load_dword v1, off, s[24:27], 0 offset:2792 ; 4-byte Folded Reload
	s_waitcnt vmcnt(2)
	v_fma_f64 v[22:23], v[37:38], v[237:238], v[22:23]
	s_waitcnt vmcnt(0)
	v_mul_f64 v[37:38], v[43:44], v[0:1]
	buffer_load_dword v0, off, s[24:27], 0 offset:2812 ; 4-byte Folded Reload
	buffer_load_dword v1, off, s[24:27], 0 offset:2816 ; 4-byte Folded Reload
	v_fma_f64 v[22:23], v[37:38], v[26:27], v[22:23]
	s_waitcnt vmcnt(0)
	v_mul_f64 v[37:38], v[47:48], v[0:1]
	buffer_load_dword v0, off, s[24:27], 0 offset:2828 ; 4-byte Folded Reload
	buffer_load_dword v1, off, s[24:27], 0 offset:2832 ; 4-byte Folded Reload
	;; [unrolled: 5-line block ×3, first 2 shown]
	v_fma_f64 v[22:23], v[37:38], v[79:80], v[22:23]
	v_mul_f64 v[37:38], v[55:56], v[73:74]
	buffer_load_dword v73, off, s[24:27], 0 offset:2340 ; 4-byte Folded Reload
	buffer_load_dword v74, off, s[24:27], 0 offset:2344 ; 4-byte Folded Reload
	buffer_load_dword v75, off, s[24:27], 0 offset:2348 ; 4-byte Folded Reload
	buffer_load_dword v76, off, s[24:27], 0 offset:2352 ; 4-byte Folded Reload
	v_fma_f64 v[22:23], v[37:38], v[83:84], v[22:23]
	s_waitcnt vmcnt(4)
	v_mul_f64 v[37:38], v[32:33], v[0:1]
	s_waitcnt vmcnt(0)
	v_fma_f64 v[22:23], v[37:38], v[75:76], v[22:23]
	v_mul_f64 v[37:38], v[43:44], v[77:78]
	buffer_load_dword v77, off, s[24:27], 0 offset:2356 ; 4-byte Folded Reload
	buffer_load_dword v78, off, s[24:27], 0 offset:2360 ; 4-byte Folded Reload
	;; [unrolled: 1-line block ×4, first 2 shown]
	s_waitcnt vmcnt(0)
	v_fma_f64 v[22:23], v[37:38], v[79:80], v[22:23]
	v_mul_f64 v[37:38], v[47:48], v[91:92]
	v_fma_f64 v[22:23], v[37:38], v[89:90], v[22:23]
	buffer_load_dword v89, off, s[24:27], 0 offset:228 ; 4-byte Folded Reload
	buffer_load_dword v90, off, s[24:27], 0 offset:232 ; 4-byte Folded Reload
	buffer_load_dword v91, off, s[24:27], 0 offset:236 ; 4-byte Folded Reload
	buffer_load_dword v92, off, s[24:27], 0 offset:240 ; 4-byte Folded Reload
	buffer_load_dword v0, off, s[24:27], 0 offset:676 ; 4-byte Folded Reload
	buffer_load_dword v1, off, s[24:27], 0 offset:680 ; 4-byte Folded Reload
	v_mul_f64 v[37:38], v[51:52], v[81:82]
	s_waitcnt vmcnt(2)
	v_fma_f64 v[22:23], v[37:38], v[91:92], v[22:23]
	s_waitcnt vmcnt(0)
	v_mul_f64 v[37:38], v[55:56], v[0:1]
	buffer_load_dword v0, off, s[24:27], 0 offset:2756 ; 4-byte Folded Reload
	buffer_load_dword v1, off, s[24:27], 0 offset:2760 ; 4-byte Folded Reload
	buffer_load_dword v79, off, s[24:27], 0 offset:2372 ; 4-byte Folded Reload
	buffer_load_dword v80, off, s[24:27], 0 offset:2376 ; 4-byte Folded Reload
	buffer_load_dword v81, off, s[24:27], 0 offset:2380 ; 4-byte Folded Reload
	buffer_load_dword v82, off, s[24:27], 0 offset:2384 ; 4-byte Folded Reload
	v_fma_f64 v[22:23], v[37:38], v[87:88], v[22:23]
	s_waitcnt vmcnt(4)
	v_mul_f64 v[37:38], v[32:33], v[0:1]
	buffer_load_dword v0, off, s[24:27], 0 offset:692 ; 4-byte Folded Reload
	buffer_load_dword v1, off, s[24:27], 0 offset:696 ; 4-byte Folded Reload
	s_waitcnt vmcnt(2)
	v_fma_f64 v[22:23], v[37:38], v[81:82], v[22:23]
	v_mul_f64 v[37:38], v[43:44], v[85:86]
	v_mov_b32_e32 v81, v93
	v_mov_b32_e32 v83, v95
	v_mov_b32_e32 v84, v96
	buffer_load_dword v83, off, s[24:27], 0 offset:260 ; 4-byte Folded Reload
	buffer_load_dword v84, off, s[24:27], 0 offset:264 ; 4-byte Folded Reload
	;; [unrolled: 1-line block ×4, first 2 shown]
	v_mov_b32_e32 v82, v94
	v_fma_f64 v[22:23], v[37:38], v[95:96], v[22:23]
	s_waitcnt vmcnt(4)
	v_mul_f64 v[37:38], v[47:48], v[0:1]
	buffer_load_dword v0, off, s[24:27], 0 offset:708 ; 4-byte Folded Reload
	buffer_load_dword v1, off, s[24:27], 0 offset:712 ; 4-byte Folded Reload
	s_waitcnt vmcnt(2)
	v_fma_f64 v[22:23], v[37:38], v[85:86], v[22:23]
	s_waitcnt vmcnt(0)
	v_mul_f64 v[37:38], v[51:52], v[0:1]
	buffer_load_dword v0, off, s[24:27], 0 offset:724 ; 4-byte Folded Reload
	buffer_load_dword v1, off, s[24:27], 0 offset:728 ; 4-byte Folded Reload
	buffer_load_dword v85, off, s[24:27], 0 offset:292 ; 4-byte Folded Reload
	buffer_load_dword v86, off, s[24:27], 0 offset:296 ; 4-byte Folded Reload
	buffer_load_dword v87, off, s[24:27], 0 offset:300 ; 4-byte Folded Reload
	buffer_load_dword v88, off, s[24:27], 0 offset:304 ; 4-byte Folded Reload
	v_fma_f64 v[22:23], v[37:38], v[99:100], v[22:23]
	s_waitcnt vmcnt(4)
	v_mul_f64 v[37:38], v[55:56], v[0:1]
	buffer_load_dword v0, off, s[24:27], 0 offset:2860 ; 4-byte Folded Reload
	buffer_load_dword v1, off, s[24:27], 0 offset:2864 ; 4-byte Folded Reload
	;; [unrolled: 1-line block ×6, first 2 shown]
	s_waitcnt vmcnt(6)
	v_fma_f64 v[22:23], v[37:38], v[87:88], v[22:23]
	s_waitcnt vmcnt(4)
	v_mul_f64 v[37:38], v[32:33], v[0:1]
	s_waitcnt vmcnt(0)
	v_fma_f64 v[22:23], v[93:94], v[37:38], v[22:23]
	buffer_load_dword v93, off, s[24:27], 0 offset:308 ; 4-byte Folded Reload
	buffer_load_dword v94, off, s[24:27], 0 offset:312 ; 4-byte Folded Reload
	;; [unrolled: 1-line block ×6, first 2 shown]
	v_mul_f64 v[37:38], v[43:44], v[97:98]
	s_waitcnt vmcnt(2)
	v_fma_f64 v[22:23], v[95:96], v[37:38], v[22:23]
	s_waitcnt vmcnt(0)
	v_mul_f64 v[37:38], v[47:48], v[0:1]
	buffer_load_dword v0, off, s[24:27], 0 offset:756 ; 4-byte Folded Reload
	buffer_load_dword v1, off, s[24:27], 0 offset:760 ; 4-byte Folded Reload
	;; [unrolled: 1-line block ×6, first 2 shown]
	v_fma_f64 v[22:23], v[103:104], v[37:38], v[22:23]
	s_waitcnt vmcnt(4)
	v_mul_f64 v[37:38], v[51:52], v[0:1]
	buffer_load_dword v0, off, s[24:27], 0 offset:772 ; 4-byte Folded Reload
	buffer_load_dword v1, off, s[24:27], 0 offset:776 ; 4-byte Folded Reload
	;; [unrolled: 1-line block ×6, first 2 shown]
	s_waitcnt vmcnt(6)
	v_fma_f64 v[22:23], v[97:98], v[37:38], v[22:23]
	s_waitcnt vmcnt(4)
	v_mul_f64 v[37:38], v[55:56], v[0:1]
	buffer_load_dword v0, off, s[24:27], 0 offset:804 ; 4-byte Folded Reload
	buffer_load_dword v1, off, s[24:27], 0 offset:808 ; 4-byte Folded Reload
	;; [unrolled: 1-line block ×6, first 2 shown]
	s_waitcnt vmcnt(6)
	v_fma_f64 v[22:23], v[37:38], v[103:104], v[22:23]
	s_waitcnt vmcnt(4)
	v_mul_f64 v[37:38], v[32:33], v[0:1]
	buffer_load_dword v0, off, s[24:27], 0 offset:820 ; 4-byte Folded Reload
	buffer_load_dword v1, off, s[24:27], 0 offset:824 ; 4-byte Folded Reload
	s_waitcnt vmcnt(2)
	v_fma_f64 v[22:23], v[37:38], v[99:100], v[22:23]
	s_waitcnt vmcnt(0)
	v_mul_f64 v[37:38], v[43:44], v[0:1]
	buffer_load_dword v0, off, s[24:27], 0 offset:836 ; 4-byte Folded Reload
	buffer_load_dword v1, off, s[24:27], 0 offset:840 ; 4-byte Folded Reload
	;; [unrolled: 1-line block ×6, first 2 shown]
	v_fma_f64 v[22:23], v[37:38], v[107:108], v[22:23]
	s_waitcnt vmcnt(4)
	v_mul_f64 v[37:38], v[47:48], v[0:1]
	buffer_load_dword v0, off, s[24:27], 0 offset:852 ; 4-byte Folded Reload
	buffer_load_dword v1, off, s[24:27], 0 offset:856 ; 4-byte Folded Reload
	s_waitcnt vmcnt(2)
	v_fma_f64 v[22:23], v[37:38], v[105:106], v[22:23]
	buffer_load_dword v105, off, s[24:27], 0 offset:404 ; 4-byte Folded Reload
	buffer_load_dword v106, off, s[24:27], 0 offset:408 ; 4-byte Folded Reload
	;; [unrolled: 1-line block ×4, first 2 shown]
	s_waitcnt vmcnt(4)
	v_mul_f64 v[37:38], v[51:52], v[0:1]
	buffer_load_dword v0, off, s[24:27], 0 offset:868 ; 4-byte Folded Reload
	buffer_load_dword v1, off, s[24:27], 0 offset:872 ; 4-byte Folded Reload
	s_waitcnt vmcnt(2)
	v_fma_f64 v[22:23], v[37:38], v[107:108], v[22:23]
	s_waitcnt vmcnt(0)
	v_mul_f64 v[37:38], v[55:56], v[0:1]
	buffer_load_dword v0, off, s[24:27], 0 offset:900 ; 4-byte Folded Reload
	buffer_load_dword v1, off, s[24:27], 0 offset:904 ; 4-byte Folded Reload
	v_fma_f64 v[22:23], v[37:38], v[12:13], v[22:23]
	s_waitcnt vmcnt(0)
	v_mul_f64 v[37:38], v[32:33], v[0:1]
	buffer_load_dword v0, off, s[24:27], 0 offset:996 ; 4-byte Folded Reload
	buffer_load_dword v1, off, s[24:27], 0 offset:1000 ; 4-byte Folded Reload
	;; [unrolled: 5-line block ×5, first 2 shown]
	buffer_load_dword v2, off, s[24:27], 0 offset:428 ; 4-byte Folded Reload
	buffer_load_dword v3, off, s[24:27], 0 offset:432 ; 4-byte Folded Reload
	s_waitcnt vmcnt(2)
	v_fma_f64 v[22:23], v[37:38], v[0:1], v[22:23]
	buffer_load_dword v0, off, s[24:27], 0 offset:916 ; 4-byte Folded Reload
	buffer_load_dword v1, off, s[24:27], 0 offset:920 ; 4-byte Folded Reload
	s_waitcnt vmcnt(0)
	v_mul_f64 v[37:38], v[55:56], v[0:1]
	buffer_load_dword v0, off, s[24:27], 0 offset:1076 ; 4-byte Folded Reload
	buffer_load_dword v1, off, s[24:27], 0 offset:1080 ; 4-byte Folded Reload
	v_fma_f64 v[22:23], v[37:38], v[2:3], v[22:23]
	s_waitcnt vmcnt(0)
	v_mul_f64 v[37:38], v[32:33], v[0:1]
	buffer_load_dword v0, off, s[24:27], 0 offset:436 ; 4-byte Folded Reload
	buffer_load_dword v1, off, s[24:27], 0 offset:440 ; 4-byte Folded Reload
	buffer_load_dword v2, off, s[24:27], 0 offset:444 ; 4-byte Folded Reload
	buffer_load_dword v3, off, s[24:27], 0 offset:448 ; 4-byte Folded Reload
	s_waitcnt vmcnt(2)
	v_fma_f64 v[22:23], v[37:38], v[0:1], v[22:23]
	buffer_load_dword v0, off, s[24:27], 0 offset:932 ; 4-byte Folded Reload
	buffer_load_dword v1, off, s[24:27], 0 offset:936 ; 4-byte Folded Reload
	s_waitcnt vmcnt(0)
	v_mul_f64 v[37:38], v[43:44], v[0:1]
	buffer_load_dword v0, off, s[24:27], 0 offset:948 ; 4-byte Folded Reload
	buffer_load_dword v1, off, s[24:27], 0 offset:952 ; 4-byte Folded Reload
	v_fma_f64 v[22:23], v[37:38], v[2:3], v[22:23]
	s_waitcnt vmcnt(0)
	v_mul_f64 v[37:38], v[47:48], v[0:1]
	buffer_load_dword v0, off, s[24:27], 0 offset:452 ; 4-byte Folded Reload
	buffer_load_dword v1, off, s[24:27], 0 offset:456 ; 4-byte Folded Reload
	;; [unrolled: 15-line block ×11, first 2 shown]
	v_fma_f64 v[22:23], v[37:38], v[217:218], v[22:23]
	s_waitcnt vmcnt(0)
	v_mul_f64 v[37:38], v[43:44], v[0:1]
	buffer_load_dword v0, off, s[24:27], 0 offset:1300 ; 4-byte Folded Reload
	buffer_load_dword v1, off, s[24:27], 0 offset:1304 ; 4-byte Folded Reload
	v_fma_f64 v[22:23], v[37:38], v[219:220], v[22:23]
	s_waitcnt vmcnt(0)
	v_mul_f64 v[37:38], v[47:48], v[0:1]
	buffer_load_dword v0, off, s[24:27], 0 offset:1316 ; 4-byte Folded Reload
	buffer_load_dword v1, off, s[24:27], 0 offset:1320 ; 4-byte Folded Reload
	v_fma_f64 v[22:23], v[37:38], v[225:226], v[22:23]
	s_waitcnt vmcnt(0)
	v_mul_f64 v[37:38], v[51:52], v[0:1]
	buffer_load_dword v0, off, s[24:27], 0 offset:1332 ; 4-byte Folded Reload
	buffer_load_dword v1, off, s[24:27], 0 offset:1336 ; 4-byte Folded Reload
	v_fma_f64 v[22:23], v[37:38], v[227:228], v[22:23]
	s_waitcnt vmcnt(0)
	v_mul_f64 v[37:38], v[55:56], v[0:1]
	buffer_load_dword v0, off, s[24:27], 0 offset:2516 ; 4-byte Folded Reload
	buffer_load_dword v1, off, s[24:27], 0 offset:2520 ; 4-byte Folded Reload
	buffer_load_dword v2, off, s[24:27], 0 offset:2524 ; 4-byte Folded Reload
	buffer_load_dword v3, off, s[24:27], 0 offset:2528 ; 4-byte Folded Reload
	s_waitcnt vmcnt(2)
	v_fma_f64 v[22:23], v[37:38], v[0:1], v[22:23]
	buffer_load_dword v0, off, s[24:27], 0 offset:1508 ; 4-byte Folded Reload
	buffer_load_dword v1, off, s[24:27], 0 offset:1512 ; 4-byte Folded Reload
	s_waitcnt vmcnt(0)
	v_mul_f64 v[37:38], v[32:33], v[0:1]
	buffer_load_dword v0, off, s[24:27], 0 offset:1524 ; 4-byte Folded Reload
	buffer_load_dword v1, off, s[24:27], 0 offset:1528 ; 4-byte Folded Reload
	v_fma_f64 v[22:23], v[37:38], v[2:3], v[22:23]
	v_mul_f64 v[2:3], v[55:56], v[65:66]
	s_waitcnt vmcnt(0)
	v_mul_f64 v[37:38], v[43:44], v[0:1]
	buffer_load_dword v0, off, s[24:27], 0 offset:1380 ; 4-byte Folded Reload
	buffer_load_dword v1, off, s[24:27], 0 offset:1384 ; 4-byte Folded Reload
	v_fma_f64 v[22:23], v[37:38], v[221:222], v[22:23]
	s_waitcnt vmcnt(0)
	v_mul_f64 v[37:38], v[47:48], v[0:1]
	buffer_load_dword v0, off, s[24:27], 0 offset:1396 ; 4-byte Folded Reload
	buffer_load_dword v1, off, s[24:27], 0 offset:1400 ; 4-byte Folded Reload
	v_fma_f64 v[22:23], v[37:38], v[223:224], v[22:23]
	;; [unrolled: 5-line block ×54, first 2 shown]
	s_waitcnt vmcnt(0)
	v_mul_f64 v[0:1], v[32:33], v[0:1]
	v_fma_f64 v[0:1], v[0:1], v[247:248], v[4:5]
	v_mul_f64 v[4:5], v[43:44], v[241:242]
	v_fma_f64 v[0:1], v[4:5], v[249:250], v[0:1]
	;; [unrolled: 2-line block ×4, first 2 shown]
	buffer_load_dword v4, off, s[24:27], 0 offset:20 ; 4-byte Folded Reload
	buffer_load_dword v5, off, s[24:27], 0 offset:24 ; 4-byte Folded Reload
	;; [unrolled: 1-line block ×6, first 2 shown]
	s_waitcnt vmcnt(2)
	v_fma_f64 v[0:1], v[2:3], v[6:7], v[0:1]
	s_waitcnt vmcnt(1)
	v_add_co_u32_e32 v201, vcc, s4, v55
	s_waitcnt vmcnt(0)
	v_addc_co_u32_e32 v202, vcc, 0, v56, vcc
	v_add_co_u32_e32 v253, vcc, s8, v55
	v_addc_co_u32_e32 v254, vcc, 0, v56, vcc
	global_store_dwordx2 v[253:254], v[0:1], off offset:-4096
	buffer_load_dword v0, off, s[24:27], 0 offset:2564 ; 4-byte Folded Reload
	s_nop 0
	buffer_load_dword v1, off, s[24:27], 0 offset:2568 ; 4-byte Folded Reload
	buffer_load_dword v4, off, s[24:27], 0 offset:36 ; 4-byte Folded Reload
	;; [unrolled: 1-line block ×9, first 2 shown]
	s_waitcnt vmcnt(8)
	v_mul_f64 v[0:1], v[239:240], v[0:1]
	v_mul_f64 v[2:3], v[28:29], v[0:1]
	;; [unrolled: 1-line block ×3, first 2 shown]
	s_waitcnt vmcnt(6)
	v_fma_f64 v[2:3], v[4:5], v[2:3], 0
	v_mul_f64 v[4:5], v[30:31], v[0:1]
	v_mul_f64 v[4:5], v[45:46], v[4:5]
	s_waitcnt vmcnt(2)
	v_fma_f64 v[2:3], v[6:7], v[4:5], v[2:3]
	buffer_load_dword v6, off, s[24:27], 0 offset:68 ; 4-byte Folded Reload
	buffer_load_dword v7, off, s[24:27], 0 offset:72 ; 4-byte Folded Reload
	;; [unrolled: 1-line block ×4, first 2 shown]
	v_mul_f64 v[4:5], v[39:40], v[0:1]
	v_mul_f64 v[4:5], v[49:50], v[4:5]
	s_waitcnt vmcnt(2)
	v_fma_f64 v[2:3], v[6:7], v[4:5], v[2:3]
	buffer_load_dword v6, off, s[24:27], 0 offset:4 ; 4-byte Folded Reload
	buffer_load_dword v7, off, s[24:27], 0 offset:8 ; 4-byte Folded Reload
	;; [unrolled: 1-line block ×4, first 2 shown]
	v_mul_f64 v[4:5], v[41:42], v[0:1]
	v_mul_f64 v[0:1], v[67:68], v[0:1]
	;; [unrolled: 1-line block ×4, first 2 shown]
	s_waitcnt vmcnt(2)
	v_fma_f64 v[2:3], v[6:7], v[4:5], v[2:3]
	buffer_load_dword v4, off, s[24:27], 0 offset:84 ; 4-byte Folded Reload
	buffer_load_dword v5, off, s[24:27], 0 offset:88 ; 4-byte Folded Reload
	;; [unrolled: 1-line block ×4, first 2 shown]
	s_waitcnt vmcnt(2)
	v_fma_f64 v[0:1], v[0:1], v[4:5], v[2:3]
	buffer_load_dword v2, off, s[24:27], 0 offset:2580 ; 4-byte Folded Reload
	buffer_load_dword v3, off, s[24:27], 0 offset:2584 ; 4-byte Folded Reload
	;; [unrolled: 1-line block ×6, first 2 shown]
	s_waitcnt vmcnt(4)
	v_mul_f64 v[2:3], v[69:70], v[2:3]
	v_mul_f64 v[4:5], v[28:29], v[2:3]
	;; [unrolled: 1-line block ×3, first 2 shown]
	s_waitcnt vmcnt(2)
	v_fma_f64 v[0:1], v[4:5], v[6:7], v[0:1]
	buffer_load_dword v6, off, s[24:27], 0 offset:116 ; 4-byte Folded Reload
	buffer_load_dword v7, off, s[24:27], 0 offset:120 ; 4-byte Folded Reload
	;; [unrolled: 1-line block ×4, first 2 shown]
	v_mul_f64 v[4:5], v[30:31], v[2:3]
	v_mul_f64 v[4:5], v[45:46], v[4:5]
	s_waitcnt vmcnt(2)
	v_fma_f64 v[0:1], v[4:5], v[6:7], v[0:1]
	buffer_load_dword v6, off, s[24:27], 0 offset:132 ; 4-byte Folded Reload
	buffer_load_dword v7, off, s[24:27], 0 offset:136 ; 4-byte Folded Reload
	;; [unrolled: 1-line block ×4, first 2 shown]
	v_mul_f64 v[4:5], v[39:40], v[2:3]
	v_mul_f64 v[4:5], v[49:50], v[4:5]
	s_waitcnt vmcnt(2)
	v_fma_f64 v[0:1], v[4:5], v[6:7], v[0:1]
	v_mul_f64 v[4:5], v[41:42], v[2:3]
	v_mul_f64 v[2:3], v[67:68], v[2:3]
	;; [unrolled: 1-line block ×4, first 2 shown]
	v_fma_f64 v[0:1], v[4:5], v[109:110], v[0:1]
	v_fma_f64 v[0:1], v[2:3], v[235:236], v[0:1]
	buffer_load_dword v2, off, s[24:27], 0 offset:2596 ; 4-byte Folded Reload
	buffer_load_dword v3, off, s[24:27], 0 offset:2600 ; 4-byte Folded Reload
	;; [unrolled: 1-line block ×6, first 2 shown]
	s_waitcnt vmcnt(4)
	v_mul_f64 v[2:3], v[59:60], v[2:3]
	v_mul_f64 v[4:5], v[28:29], v[2:3]
	;; [unrolled: 1-line block ×3, first 2 shown]
	v_fma_f64 v[0:1], v[4:5], v[24:25], v[0:1]
	v_mul_f64 v[4:5], v[30:31], v[2:3]
	v_mul_f64 v[4:5], v[45:46], v[4:5]
	s_waitcnt vmcnt(2)
	v_fma_f64 v[0:1], v[4:5], v[6:7], v[0:1]
	buffer_load_dword v6, off, s[24:27], 0 offset:180 ; 4-byte Folded Reload
	buffer_load_dword v7, off, s[24:27], 0 offset:184 ; 4-byte Folded Reload
	;; [unrolled: 1-line block ×4, first 2 shown]
	v_mul_f64 v[4:5], v[39:40], v[2:3]
	v_mul_f64 v[4:5], v[49:50], v[4:5]
	s_waitcnt vmcnt(2)
	v_fma_f64 v[0:1], v[4:5], v[6:7], v[0:1]
	buffer_load_dword v6, off, s[24:27], 0 offset:196 ; 4-byte Folded Reload
	buffer_load_dword v7, off, s[24:27], 0 offset:200 ; 4-byte Folded Reload
	;; [unrolled: 1-line block ×4, first 2 shown]
	v_mul_f64 v[4:5], v[41:42], v[2:3]
	v_mul_f64 v[2:3], v[67:68], v[2:3]
	;; [unrolled: 1-line block ×4, first 2 shown]
	s_waitcnt vmcnt(2)
	v_fma_f64 v[0:1], v[4:5], v[6:7], v[0:1]
	v_fma_f64 v[0:1], v[2:3], v[73:74], v[0:1]
	buffer_load_dword v2, off, s[24:27], 0 offset:2628 ; 4-byte Folded Reload
	buffer_load_dword v3, off, s[24:27], 0 offset:2632 ; 4-byte Folded Reload
	;; [unrolled: 1-line block ×6, first 2 shown]
	s_waitcnt vmcnt(4)
	v_mul_f64 v[2:3], v[63:64], v[2:3]
	v_mul_f64 v[4:5], v[28:29], v[2:3]
	;; [unrolled: 1-line block ×3, first 2 shown]
	v_fma_f64 v[0:1], v[4:5], v[77:78], v[0:1]
	v_mul_f64 v[4:5], v[30:31], v[2:3]
	v_mul_f64 v[4:5], v[45:46], v[4:5]
	s_waitcnt vmcnt(2)
	v_fma_f64 v[0:1], v[4:5], v[6:7], v[0:1]
	buffer_load_dword v6, off, s[24:27], 0 offset:244 ; 4-byte Folded Reload
	buffer_load_dword v7, off, s[24:27], 0 offset:248 ; 4-byte Folded Reload
	;; [unrolled: 1-line block ×4, first 2 shown]
	v_mul_f64 v[4:5], v[39:40], v[2:3]
	v_mul_f64 v[4:5], v[49:50], v[4:5]
	v_fma_f64 v[0:1], v[4:5], v[89:90], v[0:1]
	v_mul_f64 v[4:5], v[41:42], v[2:3]
	v_mul_f64 v[2:3], v[67:68], v[2:3]
	;; [unrolled: 1-line block ×4, first 2 shown]
	s_waitcnt vmcnt(2)
	v_fma_f64 v[0:1], v[4:5], v[6:7], v[0:1]
	v_fma_f64 v[0:1], v[2:3], v[79:80], v[0:1]
	buffer_load_dword v2, off, s[24:27], 0 offset:2660 ; 4-byte Folded Reload
	buffer_load_dword v3, off, s[24:27], 0 offset:2664 ; 4-byte Folded Reload
	;; [unrolled: 1-line block ×6, first 2 shown]
	s_waitcnt vmcnt(4)
	v_mul_f64 v[2:3], v[233:234], v[2:3]
	v_mul_f64 v[4:5], v[28:29], v[2:3]
	;; [unrolled: 1-line block ×3, first 2 shown]
	v_fma_f64 v[0:1], v[4:5], v[81:82], v[0:1]
	v_mul_f64 v[4:5], v[30:31], v[2:3]
	v_mul_f64 v[4:5], v[45:46], v[4:5]
	v_fma_f64 v[0:1], v[4:5], v[83:84], v[0:1]
	v_mul_f64 v[4:5], v[39:40], v[2:3]
	v_mul_f64 v[4:5], v[49:50], v[4:5]
	s_waitcnt vmcnt(2)
	v_fma_f64 v[0:1], v[4:5], v[6:7], v[0:1]
	v_mul_f64 v[4:5], v[41:42], v[2:3]
	v_mul_f64 v[2:3], v[67:68], v[2:3]
	;; [unrolled: 1-line block ×4, first 2 shown]
	v_fma_f64 v[0:1], v[4:5], v[85:86], v[0:1]
	v_fma_f64 v[0:1], v[2:3], v[91:92], v[0:1]
	buffer_load_dword v2, off, s[24:27], 0 offset:2676 ; 4-byte Folded Reload
	buffer_load_dword v3, off, s[24:27], 0 offset:2680 ; 4-byte Folded Reload
	;; [unrolled: 1-line block ×6, first 2 shown]
	s_waitcnt vmcnt(4)
	v_mul_f64 v[2:3], v[239:240], v[2:3]
	v_mul_f64 v[4:5], v[28:29], v[2:3]
	;; [unrolled: 1-line block ×3, first 2 shown]
	v_fma_f64 v[0:1], v[93:94], v[4:5], v[0:1]
	v_mul_f64 v[4:5], v[30:31], v[2:3]
	v_mul_f64 v[4:5], v[45:46], v[4:5]
	s_waitcnt vmcnt(2)
	v_fma_f64 v[0:1], v[6:7], v[4:5], v[0:1]
	v_mul_f64 v[4:5], v[39:40], v[2:3]
	v_mul_f64 v[4:5], v[49:50], v[4:5]
	v_fma_f64 v[0:1], v[95:96], v[4:5], v[0:1]
	v_mul_f64 v[4:5], v[41:42], v[2:3]
	v_mul_f64 v[2:3], v[67:68], v[2:3]
	;; [unrolled: 1-line block ×4, first 2 shown]
	v_fma_f64 v[0:1], v[101:102], v[4:5], v[0:1]
	v_fma_f64 v[0:1], v[2:3], v[97:98], v[0:1]
	buffer_load_dword v2, off, s[24:27], 0 offset:2692 ; 4-byte Folded Reload
	buffer_load_dword v3, off, s[24:27], 0 offset:2696 ; 4-byte Folded Reload
	;; [unrolled: 1-line block ×6, first 2 shown]
	ds_read_b128 v[16:19], v255 offset:256
	s_waitcnt lgkmcnt(0)
	buffer_store_dword v16, off, s[24:27], 0 offset:1716 ; 4-byte Folded Spill
	s_nop 0
	buffer_store_dword v17, off, s[24:27], 0 offset:1720 ; 4-byte Folded Spill
	buffer_store_dword v18, off, s[24:27], 0 offset:1724 ; 4-byte Folded Spill
	;; [unrolled: 1-line block ×3, first 2 shown]
	ds_read_b128 v[10:13], v255 offset:272
	s_waitcnt lgkmcnt(0)
	buffer_store_dword v10, off, s[24:27], 0 offset:1796 ; 4-byte Folded Spill
	s_nop 0
	buffer_store_dword v11, off, s[24:27], 0 offset:1800 ; 4-byte Folded Spill
	buffer_store_dword v12, off, s[24:27], 0 offset:1804 ; 4-byte Folded Spill
	;; [unrolled: 1-line block ×3, first 2 shown]
	s_waitcnt vmcnt(8)
	ds_read_b128 v[8:11], v255 offset:288
	s_waitcnt lgkmcnt(0)
	buffer_store_dword v8, off, s[24:27], 0 offset:1732 ; 4-byte Folded Spill
	s_nop 0
	buffer_store_dword v9, off, s[24:27], 0 offset:1736 ; 4-byte Folded Spill
	buffer_store_dword v10, off, s[24:27], 0 offset:1740 ; 4-byte Folded Spill
	;; [unrolled: 1-line block ×3, first 2 shown]
	v_mul_f64 v[2:3], v[69:70], v[2:3]
	v_mul_f64 v[4:5], v[28:29], v[2:3]
	;; [unrolled: 1-line block ×3, first 2 shown]
	v_fma_f64 v[0:1], v[4:5], v[6:7], v[0:1]
	v_mul_f64 v[4:5], v[30:31], v[2:3]
	ds_read_b128 v[6:9], v255 offset:304
	s_waitcnt lgkmcnt(0)
	buffer_store_dword v6, off, s[24:27], 0 offset:1780 ; 4-byte Folded Spill
	s_nop 0
	buffer_store_dword v7, off, s[24:27], 0 offset:1784 ; 4-byte Folded Spill
	buffer_store_dword v8, off, s[24:27], 0 offset:1788 ; 4-byte Folded Spill
	;; [unrolled: 1-line block ×3, first 2 shown]
	v_mul_f64 v[4:5], v[45:46], v[4:5]
	v_fma_f64 v[0:1], v[4:5], v[103:104], v[0:1]
	v_mul_f64 v[4:5], v[39:40], v[2:3]
	v_mul_f64 v[4:5], v[49:50], v[4:5]
	v_fma_f64 v[0:1], v[4:5], v[105:106], v[0:1]
	v_mul_f64 v[4:5], v[41:42], v[2:3]
	v_mul_f64 v[2:3], v[67:68], v[2:3]
	;; [unrolled: 1-line block ×4, first 2 shown]
	v_fma_f64 v[0:1], v[4:5], v[18:19], v[0:1]
	ds_read2_b64 v[18:21], v255 offset0:33 offset1:34
	s_waitcnt lgkmcnt(0)
	buffer_store_dword v18, off, s[24:27], 0 offset:1748 ; 4-byte Folded Spill
	s_nop 0
	buffer_store_dword v19, off, s[24:27], 0 offset:1752 ; 4-byte Folded Spill
	buffer_store_dword v20, off, s[24:27], 0 offset:1756 ; 4-byte Folded Spill
	;; [unrolled: 1-line block ×3, first 2 shown]
	v_fma_f64 v[0:1], v[2:3], v[20:21], v[0:1]
	buffer_load_dword v2, off, s[24:27], 0 offset:2644 ; 4-byte Folded Reload
	buffer_load_dword v3, off, s[24:27], 0 offset:2648 ; 4-byte Folded Reload
	s_waitcnt vmcnt(0)
	v_mul_f64 v[2:3], v[59:60], v[2:3]
	v_mul_f64 v[4:5], v[28:29], v[2:3]
	;; [unrolled: 1-line block ×3, first 2 shown]
	v_fma_f64 v[0:1], v[4:5], v[12:13], v[0:1]
	ds_read2_b64 v[12:15], v255 offset0:35 offset1:36
	s_waitcnt lgkmcnt(0)
	buffer_store_dword v12, off, s[24:27], 0 offset:1764 ; 4-byte Folded Spill
	s_nop 0
	buffer_store_dword v13, off, s[24:27], 0 offset:1768 ; 4-byte Folded Spill
	buffer_store_dword v14, off, s[24:27], 0 offset:1772 ; 4-byte Folded Spill
	;; [unrolled: 1-line block ×3, first 2 shown]
	v_mul_f64 v[4:5], v[30:31], v[2:3]
	v_mul_f64 v[4:5], v[45:46], v[4:5]
	v_fma_f64 v[0:1], v[4:5], v[14:15], v[0:1]
	v_mul_f64 v[4:5], v[39:40], v[2:3]
	v_mul_f64 v[4:5], v[49:50], v[4:5]
	v_fma_f64 v[0:1], v[4:5], v[10:11], v[0:1]
	ds_read2_b64 v[10:13], v255 offset0:37 offset1:38
	s_waitcnt lgkmcnt(0)
	buffer_store_dword v10, off, s[24:27], 0 offset:1812 ; 4-byte Folded Spill
	s_nop 0
	buffer_store_dword v11, off, s[24:27], 0 offset:1816 ; 4-byte Folded Spill
	buffer_store_dword v12, off, s[24:27], 0 offset:1820 ; 4-byte Folded Spill
	;; [unrolled: 1-line block ×3, first 2 shown]
	v_mul_f64 v[4:5], v[41:42], v[2:3]
	v_mul_f64 v[2:3], v[67:68], v[2:3]
	;; [unrolled: 1-line block ×4, first 2 shown]
	v_fma_f64 v[0:1], v[4:5], v[12:13], v[0:1]
	v_fma_f64 v[0:1], v[2:3], v[8:9], v[0:1]
	buffer_load_dword v2, off, s[24:27], 0 offset:2612 ; 4-byte Folded Reload
	buffer_load_dword v3, off, s[24:27], 0 offset:2616 ; 4-byte Folded Reload
	ds_read2_b64 v[6:9], v255 offset0:39 offset1:40
	s_waitcnt lgkmcnt(0)
	buffer_store_dword v6, off, s[24:27], 0 offset:1844 ; 4-byte Folded Spill
	s_nop 0
	buffer_store_dword v7, off, s[24:27], 0 offset:1848 ; 4-byte Folded Spill
	buffer_store_dword v8, off, s[24:27], 0 offset:1852 ; 4-byte Folded Spill
	;; [unrolled: 1-line block ×3, first 2 shown]
	s_waitcnt vmcnt(4)
	v_mul_f64 v[2:3], v[63:64], v[2:3]
	v_mul_f64 v[4:5], v[28:29], v[2:3]
	;; [unrolled: 1-line block ×3, first 2 shown]
	v_fma_f64 v[0:1], v[4:5], v[8:9], v[0:1]
	ds_read_b128 v[6:9], v255 offset:320
	s_waitcnt lgkmcnt(0)
	buffer_store_dword v6, off, s[24:27], 0 offset:1828 ; 4-byte Folded Spill
	s_nop 0
	buffer_store_dword v7, off, s[24:27], 0 offset:1832 ; 4-byte Folded Spill
	buffer_store_dword v8, off, s[24:27], 0 offset:1836 ; 4-byte Folded Spill
	;; [unrolled: 1-line block ×3, first 2 shown]
	v_mul_f64 v[4:5], v[30:31], v[2:3]
	v_mul_f64 v[4:5], v[45:46], v[4:5]
	v_fma_f64 v[0:1], v[4:5], v[8:9], v[0:1]
	ds_read2_b64 v[6:9], v255 offset0:41 offset1:42
	s_waitcnt lgkmcnt(0)
	buffer_store_dword v6, off, s[24:27], 0 offset:1860 ; 4-byte Folded Spill
	s_nop 0
	buffer_store_dword v7, off, s[24:27], 0 offset:1864 ; 4-byte Folded Spill
	buffer_store_dword v8, off, s[24:27], 0 offset:1868 ; 4-byte Folded Spill
	buffer_store_dword v9, off, s[24:27], 0 offset:1872 ; 4-byte Folded Spill
	v_mul_f64 v[4:5], v[39:40], v[2:3]
	v_mul_f64 v[4:5], v[49:50], v[4:5]
	v_fma_f64 v[0:1], v[4:5], v[8:9], v[0:1]
	ds_read_b128 v[6:9], v255 offset:336
	s_waitcnt lgkmcnt(0)
	buffer_store_dword v6, off, s[24:27], 0 offset:1876 ; 4-byte Folded Spill
	s_nop 0
	buffer_store_dword v7, off, s[24:27], 0 offset:1880 ; 4-byte Folded Spill
	buffer_store_dword v8, off, s[24:27], 0 offset:1884 ; 4-byte Folded Spill
	;; [unrolled: 1-line block ×3, first 2 shown]
	v_mul_f64 v[4:5], v[41:42], v[2:3]
	v_mul_f64 v[2:3], v[67:68], v[2:3]
	;; [unrolled: 1-line block ×4, first 2 shown]
	v_fma_f64 v[0:1], v[4:5], v[8:9], v[0:1]
	ds_read2_b64 v[4:7], v255 offset0:43 offset1:44
	s_waitcnt lgkmcnt(0)
	buffer_store_dword v4, off, s[24:27], 0 offset:1892 ; 4-byte Folded Spill
	s_nop 0
	buffer_store_dword v5, off, s[24:27], 0 offset:1896 ; 4-byte Folded Spill
	buffer_store_dword v6, off, s[24:27], 0 offset:1900 ; 4-byte Folded Spill
	;; [unrolled: 1-line block ×3, first 2 shown]
	v_fma_f64 v[0:1], v[2:3], v[6:7], v[0:1]
	buffer_load_dword v2, off, s[24:27], 0 offset:2548 ; 4-byte Folded Reload
	buffer_load_dword v3, off, s[24:27], 0 offset:2552 ; 4-byte Folded Reload
	ds_read_b128 v[6:9], v255 offset:352
	s_waitcnt lgkmcnt(0)
	buffer_store_dword v6, off, s[24:27], 0 offset:1924 ; 4-byte Folded Spill
	s_nop 0
	buffer_store_dword v7, off, s[24:27], 0 offset:1928 ; 4-byte Folded Spill
	buffer_store_dword v8, off, s[24:27], 0 offset:1932 ; 4-byte Folded Spill
	;; [unrolled: 1-line block ×3, first 2 shown]
	s_waitcnt vmcnt(4)
	v_mul_f64 v[2:3], v[233:234], v[2:3]
	v_mul_f64 v[4:5], v[28:29], v[2:3]
	;; [unrolled: 1-line block ×3, first 2 shown]
	v_fma_f64 v[0:1], v[4:5], v[8:9], v[0:1]
	ds_read2_b64 v[6:9], v255 offset0:45 offset1:46
	s_waitcnt lgkmcnt(0)
	buffer_store_dword v6, off, s[24:27], 0 offset:1908 ; 4-byte Folded Spill
	s_nop 0
	buffer_store_dword v7, off, s[24:27], 0 offset:1912 ; 4-byte Folded Spill
	buffer_store_dword v8, off, s[24:27], 0 offset:1916 ; 4-byte Folded Spill
	;; [unrolled: 1-line block ×3, first 2 shown]
	v_mul_f64 v[4:5], v[30:31], v[2:3]
	v_mul_f64 v[4:5], v[45:46], v[4:5]
	v_fma_f64 v[0:1], v[4:5], v[8:9], v[0:1]
	ds_read_b128 v[6:9], v255 offset:368
	s_waitcnt lgkmcnt(0)
	buffer_store_dword v6, off, s[24:27], 0 offset:1940 ; 4-byte Folded Spill
	s_nop 0
	buffer_store_dword v7, off, s[24:27], 0 offset:1944 ; 4-byte Folded Spill
	buffer_store_dword v8, off, s[24:27], 0 offset:1948 ; 4-byte Folded Spill
	;; [unrolled: 1-line block ×3, first 2 shown]
	v_mul_f64 v[4:5], v[39:40], v[2:3]
	v_mul_f64 v[4:5], v[49:50], v[4:5]
	v_fma_f64 v[0:1], v[4:5], v[8:9], v[0:1]
	ds_read2_b64 v[6:9], v255 offset0:47 offset1:48
	s_waitcnt lgkmcnt(0)
	buffer_store_dword v6, off, s[24:27], 0 offset:1956 ; 4-byte Folded Spill
	s_nop 0
	buffer_store_dword v7, off, s[24:27], 0 offset:1960 ; 4-byte Folded Spill
	buffer_store_dword v8, off, s[24:27], 0 offset:1964 ; 4-byte Folded Spill
	;; [unrolled: 1-line block ×3, first 2 shown]
	v_mul_f64 v[4:5], v[41:42], v[2:3]
	v_mul_f64 v[2:3], v[67:68], v[2:3]
	;; [unrolled: 1-line block ×4, first 2 shown]
	v_fma_f64 v[0:1], v[4:5], v[8:9], v[0:1]
	ds_read_b128 v[4:7], v255 offset:384
	s_waitcnt lgkmcnt(0)
	buffer_store_dword v4, off, s[24:27], 0 offset:1972 ; 4-byte Folded Spill
	s_nop 0
	buffer_store_dword v5, off, s[24:27], 0 offset:1976 ; 4-byte Folded Spill
	buffer_store_dword v6, off, s[24:27], 0 offset:1980 ; 4-byte Folded Spill
	;; [unrolled: 1-line block ×3, first 2 shown]
	buffer_load_dword v36, off, s[24:27], s10 ; 4-byte Folded Reload
	s_mov_b32 s10, 0x43a00
	v_fma_f64 v[0:1], v[2:3], v[6:7], v[0:1]
	s_waitcnt vmcnt(0)
	ds_read2_b64 v[2:5], v36 offset0:4 offset1:8
	s_waitcnt lgkmcnt(0)
	buffer_store_dword v2, off, s[24:27], 0 offset:2004 ; 4-byte Folded Spill
	s_nop 0
	buffer_store_dword v3, off, s[24:27], 0 offset:2008 ; 4-byte Folded Spill
	buffer_store_dword v4, off, s[24:27], 0 offset:2012 ; 4-byte Folded Spill
	;; [unrolled: 1-line block ×3, first 2 shown]
	ds_read2_b64 v[6:9], v36 offset0:8 offset1:12
	s_waitcnt lgkmcnt(0)
	buffer_store_dword v6, off, s[24:27], 0 offset:1700 ; 4-byte Folded Spill
	s_nop 0
	buffer_store_dword v7, off, s[24:27], 0 offset:1704 ; 4-byte Folded Spill
	buffer_store_dword v8, off, s[24:27], 0 offset:1708 ; 4-byte Folded Spill
	buffer_store_dword v9, off, s[24:27], 0 offset:1712 ; 4-byte Folded Spill
	buffer_load_dword v10, off, s[24:27], 0 offset:596 ; 4-byte Folded Reload
	buffer_load_dword v11, off, s[24:27], 0 offset:600 ; 4-byte Folded Reload
	;; [unrolled: 1-line block ×4, first 2 shown]
	s_waitcnt vmcnt(0)
	v_mul_f64 v[2:3], v[4:5], v[12:13]
	ds_read2_b64 v[10:13], v255 offset0:49 offset1:50
	s_waitcnt lgkmcnt(0)
	buffer_store_dword v10, off, s[24:27], 0 offset:1988 ; 4-byte Folded Spill
	s_nop 0
	buffer_store_dword v11, off, s[24:27], 0 offset:1992 ; 4-byte Folded Spill
	buffer_store_dword v12, off, s[24:27], 0 offset:1996 ; 4-byte Folded Spill
	;; [unrolled: 1-line block ×3, first 2 shown]
	v_mul_f64 v[4:5], v[153:154], v[2:3]
	v_mul_f64 v[4:5], v[239:240], v[4:5]
	;; [unrolled: 1-line block ×4, first 2 shown]
	v_fma_f64 v[0:1], v[12:13], v[6:7], v[0:1]
	ds_read_b128 v[12:15], v255 offset:400
	s_waitcnt lgkmcnt(0)
	buffer_store_dword v12, off, s[24:27], 0 offset:1300 ; 4-byte Folded Spill
	s_nop 0
	buffer_store_dword v13, off, s[24:27], 0 offset:1304 ; 4-byte Folded Spill
	buffer_store_dword v14, off, s[24:27], 0 offset:1308 ; 4-byte Folded Spill
	;; [unrolled: 1-line block ×3, first 2 shown]
	v_mul_f64 v[6:7], v[30:31], v[4:5]
	v_mul_f64 v[6:7], v[45:46], v[6:7]
	v_fma_f64 v[0:1], v[14:15], v[6:7], v[0:1]
	ds_read2_b64 v[12:15], v255 offset0:51 offset1:52
	s_waitcnt lgkmcnt(0)
	buffer_store_dword v12, off, s[24:27], 0 offset:1316 ; 4-byte Folded Spill
	s_nop 0
	buffer_store_dword v13, off, s[24:27], 0 offset:1320 ; 4-byte Folded Spill
	buffer_store_dword v14, off, s[24:27], 0 offset:1324 ; 4-byte Folded Spill
	;; [unrolled: 1-line block ×3, first 2 shown]
	v_mul_f64 v[6:7], v[39:40], v[4:5]
	v_mul_f64 v[6:7], v[49:50], v[6:7]
	v_fma_f64 v[0:1], v[14:15], v[6:7], v[0:1]
	ds_read_b128 v[12:15], v255 offset:416
	s_waitcnt lgkmcnt(0)
	buffer_store_dword v12, off, s[24:27], 0 offset:1332 ; 4-byte Folded Spill
	s_nop 0
	buffer_store_dword v13, off, s[24:27], 0 offset:1336 ; 4-byte Folded Spill
	buffer_store_dword v14, off, s[24:27], 0 offset:1340 ; 4-byte Folded Spill
	;; [unrolled: 1-line block ×3, first 2 shown]
	v_mul_f64 v[6:7], v[41:42], v[4:5]
	v_mul_f64 v[4:5], v[67:68], v[4:5]
	;; [unrolled: 1-line block ×4, first 2 shown]
	v_fma_f64 v[0:1], v[14:15], v[6:7], v[0:1]
	ds_read2_b64 v[12:15], v255 offset0:53 offset1:54
	s_waitcnt lgkmcnt(0)
	buffer_store_dword v12, off, s[24:27], 0 offset:1348 ; 4-byte Folded Spill
	s_nop 0
	buffer_store_dword v13, off, s[24:27], 0 offset:1352 ; 4-byte Folded Spill
	buffer_store_dword v14, off, s[24:27], 0 offset:1356 ; 4-byte Folded Spill
	;; [unrolled: 1-line block ×3, first 2 shown]
	v_fma_f64 v[0:1], v[4:5], v[14:15], v[0:1]
	ds_read_b128 v[12:15], v255 offset:432
	s_waitcnt lgkmcnt(0)
	buffer_store_dword v12, off, s[24:27], 0 offset:1380 ; 4-byte Folded Spill
	s_nop 0
	buffer_store_dword v13, off, s[24:27], 0 offset:1384 ; 4-byte Folded Spill
	buffer_store_dword v14, off, s[24:27], 0 offset:1388 ; 4-byte Folded Spill
	;; [unrolled: 1-line block ×3, first 2 shown]
	v_mul_f64 v[4:5], v[155:156], v[2:3]
	v_mul_f64 v[4:5], v[69:70], v[4:5]
	;; [unrolled: 1-line block ×4, first 2 shown]
	v_fma_f64 v[0:1], v[6:7], v[14:15], v[0:1]
	ds_read2_b64 v[12:15], v255 offset0:55 offset1:56
	s_waitcnt lgkmcnt(0)
	buffer_store_dword v12, off, s[24:27], 0 offset:1364 ; 4-byte Folded Spill
	s_nop 0
	buffer_store_dword v13, off, s[24:27], 0 offset:1368 ; 4-byte Folded Spill
	buffer_store_dword v14, off, s[24:27], 0 offset:1372 ; 4-byte Folded Spill
	buffer_store_dword v15, off, s[24:27], 0 offset:1376 ; 4-byte Folded Spill
	v_mul_f64 v[6:7], v[30:31], v[4:5]
	v_mul_f64 v[6:7], v[45:46], v[6:7]
	v_fma_f64 v[0:1], v[6:7], v[14:15], v[0:1]
	ds_read_b128 v[12:15], v255 offset:448
	s_waitcnt lgkmcnt(0)
	buffer_store_dword v12, off, s[24:27], 0 offset:1396 ; 4-byte Folded Spill
	s_nop 0
	buffer_store_dword v13, off, s[24:27], 0 offset:1400 ; 4-byte Folded Spill
	buffer_store_dword v14, off, s[24:27], 0 offset:1404 ; 4-byte Folded Spill
	;; [unrolled: 1-line block ×3, first 2 shown]
	v_mul_f64 v[6:7], v[39:40], v[4:5]
	v_mul_f64 v[6:7], v[49:50], v[6:7]
	v_fma_f64 v[0:1], v[6:7], v[14:15], v[0:1]
	ds_read2_b64 v[12:15], v255 offset0:57 offset1:58
	s_waitcnt lgkmcnt(0)
	buffer_store_dword v12, off, s[24:27], 0 offset:1412 ; 4-byte Folded Spill
	s_nop 0
	buffer_store_dword v13, off, s[24:27], 0 offset:1416 ; 4-byte Folded Spill
	buffer_store_dword v14, off, s[24:27], 0 offset:1420 ; 4-byte Folded Spill
	;; [unrolled: 1-line block ×3, first 2 shown]
	v_mul_f64 v[6:7], v[41:42], v[4:5]
	v_mul_f64 v[4:5], v[67:68], v[4:5]
	;; [unrolled: 1-line block ×4, first 2 shown]
	v_fma_f64 v[0:1], v[6:7], v[14:15], v[0:1]
	ds_read_b128 v[12:15], v255 offset:464
	s_waitcnt lgkmcnt(0)
	buffer_store_dword v12, off, s[24:27], 0 offset:1428 ; 4-byte Folded Spill
	s_nop 0
	buffer_store_dword v13, off, s[24:27], 0 offset:1432 ; 4-byte Folded Spill
	buffer_store_dword v14, off, s[24:27], 0 offset:1436 ; 4-byte Folded Spill
	;; [unrolled: 1-line block ×3, first 2 shown]
	v_fma_f64 v[0:1], v[4:5], v[14:15], v[0:1]
	ds_read2_b64 v[12:15], v255 offset0:59 offset1:60
	s_waitcnt lgkmcnt(0)
	buffer_store_dword v12, off, s[24:27], 0 offset:1460 ; 4-byte Folded Spill
	s_nop 0
	buffer_store_dword v13, off, s[24:27], 0 offset:1464 ; 4-byte Folded Spill
	buffer_store_dword v14, off, s[24:27], 0 offset:1468 ; 4-byte Folded Spill
	buffer_store_dword v15, off, s[24:27], 0 offset:1472 ; 4-byte Folded Spill
	v_mul_f64 v[4:5], v[161:162], v[2:3]
	v_mul_f64 v[4:5], v[59:60], v[4:5]
	;; [unrolled: 1-line block ×4, first 2 shown]
	v_fma_f64 v[0:1], v[6:7], v[14:15], v[0:1]
	ds_read_b128 v[12:15], v255 offset:480
	s_waitcnt lgkmcnt(0)
	buffer_store_dword v12, off, s[24:27], 0 offset:1444 ; 4-byte Folded Spill
	s_nop 0
	buffer_store_dword v13, off, s[24:27], 0 offset:1448 ; 4-byte Folded Spill
	buffer_store_dword v14, off, s[24:27], 0 offset:1452 ; 4-byte Folded Spill
	;; [unrolled: 1-line block ×3, first 2 shown]
	v_mul_f64 v[6:7], v[30:31], v[4:5]
	v_mul_f64 v[6:7], v[45:46], v[6:7]
	v_fma_f64 v[0:1], v[6:7], v[14:15], v[0:1]
	ds_read2_b64 v[12:15], v255 offset0:61 offset1:62
	s_waitcnt lgkmcnt(0)
	buffer_store_dword v12, off, s[24:27], 0 offset:1476 ; 4-byte Folded Spill
	s_nop 0
	buffer_store_dword v13, off, s[24:27], 0 offset:1480 ; 4-byte Folded Spill
	buffer_store_dword v14, off, s[24:27], 0 offset:1484 ; 4-byte Folded Spill
	;; [unrolled: 1-line block ×3, first 2 shown]
	v_mul_f64 v[6:7], v[39:40], v[4:5]
	v_mul_f64 v[6:7], v[49:50], v[6:7]
	v_fma_f64 v[0:1], v[6:7], v[14:15], v[0:1]
	ds_read_b128 v[12:15], v255 offset:496
	s_waitcnt lgkmcnt(0)
	buffer_store_dword v12, off, s[24:27], 0 offset:1492 ; 4-byte Folded Spill
	s_nop 0
	buffer_store_dword v13, off, s[24:27], 0 offset:1496 ; 4-byte Folded Spill
	buffer_store_dword v14, off, s[24:27], 0 offset:1500 ; 4-byte Folded Spill
	;; [unrolled: 1-line block ×3, first 2 shown]
	v_mul_f64 v[6:7], v[41:42], v[4:5]
	v_mul_f64 v[4:5], v[67:68], v[4:5]
	;; [unrolled: 1-line block ×4, first 2 shown]
	v_fma_f64 v[0:1], v[6:7], v[14:15], v[0:1]
	ds_read2_b64 v[12:15], v255 offset0:63 offset1:64
	s_waitcnt lgkmcnt(0)
	buffer_store_dword v12, off, s[24:27], 0 offset:1508 ; 4-byte Folded Spill
	s_nop 0
	buffer_store_dword v13, off, s[24:27], 0 offset:1512 ; 4-byte Folded Spill
	buffer_store_dword v14, off, s[24:27], 0 offset:1516 ; 4-byte Folded Spill
	;; [unrolled: 1-line block ×3, first 2 shown]
	v_fma_f64 v[0:1], v[4:5], v[14:15], v[0:1]
	ds_read_b128 v[12:15], v255 offset:512
	s_waitcnt lgkmcnt(0)
	buffer_store_dword v12, off, s[24:27], 0 offset:1540 ; 4-byte Folded Spill
	s_nop 0
	buffer_store_dword v13, off, s[24:27], 0 offset:1544 ; 4-byte Folded Spill
	buffer_store_dword v14, off, s[24:27], 0 offset:1548 ; 4-byte Folded Spill
	;; [unrolled: 1-line block ×3, first 2 shown]
	v_mul_f64 v[4:5], v[163:164], v[2:3]
	v_mul_f64 v[4:5], v[63:64], v[4:5]
	;; [unrolled: 1-line block ×4, first 2 shown]
	v_fma_f64 v[0:1], v[6:7], v[14:15], v[0:1]
	ds_read2_b64 v[12:15], v255 offset0:65 offset1:66
	s_waitcnt lgkmcnt(0)
	buffer_store_dword v12, off, s[24:27], 0 offset:1524 ; 4-byte Folded Spill
	s_nop 0
	buffer_store_dword v13, off, s[24:27], 0 offset:1528 ; 4-byte Folded Spill
	buffer_store_dword v14, off, s[24:27], 0 offset:1532 ; 4-byte Folded Spill
	;; [unrolled: 1-line block ×3, first 2 shown]
	v_mul_f64 v[6:7], v[30:31], v[4:5]
	v_mul_f64 v[6:7], v[45:46], v[6:7]
	v_fma_f64 v[0:1], v[6:7], v[14:15], v[0:1]
	ds_read_b128 v[12:15], v255 offset:528
	s_waitcnt lgkmcnt(0)
	buffer_store_dword v12, off, s[24:27], 0 offset:1556 ; 4-byte Folded Spill
	s_nop 0
	buffer_store_dword v13, off, s[24:27], 0 offset:1560 ; 4-byte Folded Spill
	buffer_store_dword v14, off, s[24:27], 0 offset:1564 ; 4-byte Folded Spill
	;; [unrolled: 1-line block ×3, first 2 shown]
	v_mul_f64 v[6:7], v[39:40], v[4:5]
	v_mul_f64 v[6:7], v[49:50], v[6:7]
	v_fma_f64 v[0:1], v[6:7], v[14:15], v[0:1]
	ds_read2_b64 v[12:15], v255 offset0:67 offset1:68
	s_waitcnt lgkmcnt(0)
	buffer_store_dword v12, off, s[24:27], 0 offset:1572 ; 4-byte Folded Spill
	s_nop 0
	buffer_store_dword v13, off, s[24:27], 0 offset:1576 ; 4-byte Folded Spill
	buffer_store_dword v14, off, s[24:27], 0 offset:1580 ; 4-byte Folded Spill
	buffer_store_dword v15, off, s[24:27], 0 offset:1584 ; 4-byte Folded Spill
	v_mul_f64 v[6:7], v[41:42], v[4:5]
	v_mul_f64 v[4:5], v[67:68], v[4:5]
	;; [unrolled: 1-line block ×4, first 2 shown]
	v_fma_f64 v[0:1], v[6:7], v[14:15], v[0:1]
	ds_read_b128 v[12:15], v255 offset:544
	s_waitcnt lgkmcnt(0)
	buffer_store_dword v12, off, s[24:27], 0 offset:1588 ; 4-byte Folded Spill
	s_nop 0
	buffer_store_dword v13, off, s[24:27], 0 offset:1592 ; 4-byte Folded Spill
	buffer_store_dword v14, off, s[24:27], 0 offset:1596 ; 4-byte Folded Spill
	;; [unrolled: 1-line block ×3, first 2 shown]
	buffer_load_dword v16, off, s[24:27], 0 offset:2300 ; 4-byte Folded Reload
	buffer_load_dword v17, off, s[24:27], 0 offset:2304 ; 4-byte Folded Reload
	v_fma_f64 v[0:1], v[4:5], v[14:15], v[0:1]
	ds_read2_b64 v[12:15], v255 offset0:69 offset1:70
	s_waitcnt lgkmcnt(0)
	buffer_store_dword v12, off, s[24:27], 0 offset:1620 ; 4-byte Folded Spill
	s_nop 0
	buffer_store_dword v13, off, s[24:27], 0 offset:1624 ; 4-byte Folded Spill
	buffer_store_dword v14, off, s[24:27], 0 offset:1628 ; 4-byte Folded Spill
	;; [unrolled: 1-line block ×3, first 2 shown]
	s_waitcnt vmcnt(4)
	v_mul_f64 v[2:3], v[16:17], v[2:3]
	v_mul_f64 v[2:3], v[233:234], v[2:3]
	;; [unrolled: 1-line block ×4, first 2 shown]
	v_fma_f64 v[0:1], v[4:5], v[14:15], v[0:1]
	ds_read_b128 v[12:15], v255 offset:560
	s_waitcnt lgkmcnt(0)
	buffer_store_dword v12, off, s[24:27], 0 offset:1604 ; 4-byte Folded Spill
	s_nop 0
	buffer_store_dword v13, off, s[24:27], 0 offset:1608 ; 4-byte Folded Spill
	buffer_store_dword v14, off, s[24:27], 0 offset:1612 ; 4-byte Folded Spill
	;; [unrolled: 1-line block ×3, first 2 shown]
	v_mul_f64 v[4:5], v[30:31], v[2:3]
	v_mul_f64 v[4:5], v[45:46], v[4:5]
	v_fma_f64 v[0:1], v[4:5], v[14:15], v[0:1]
	ds_read2_b64 v[12:15], v255 offset0:71 offset1:72
	s_waitcnt lgkmcnt(0)
	buffer_store_dword v12, off, s[24:27], 0 offset:1636 ; 4-byte Folded Spill
	s_nop 0
	buffer_store_dword v13, off, s[24:27], 0 offset:1640 ; 4-byte Folded Spill
	buffer_store_dword v14, off, s[24:27], 0 offset:1644 ; 4-byte Folded Spill
	;; [unrolled: 1-line block ×3, first 2 shown]
	v_mul_f64 v[4:5], v[39:40], v[2:3]
	v_mul_f64 v[4:5], v[49:50], v[4:5]
	v_fma_f64 v[0:1], v[4:5], v[14:15], v[0:1]
	ds_read_b128 v[12:15], v255 offset:576
	s_waitcnt lgkmcnt(0)
	buffer_store_dword v12, off, s[24:27], 0 offset:1652 ; 4-byte Folded Spill
	s_nop 0
	buffer_store_dword v13, off, s[24:27], 0 offset:1656 ; 4-byte Folded Spill
	buffer_store_dword v14, off, s[24:27], 0 offset:1660 ; 4-byte Folded Spill
	;; [unrolled: 1-line block ×3, first 2 shown]
	v_mul_f64 v[4:5], v[41:42], v[2:3]
	v_mul_f64 v[2:3], v[67:68], v[2:3]
	;; [unrolled: 1-line block ×4, first 2 shown]
	v_fma_f64 v[0:1], v[4:5], v[14:15], v[0:1]
	ds_read2_b64 v[4:7], v255 offset0:73 offset1:74
	s_waitcnt lgkmcnt(0)
	buffer_store_dword v4, off, s[24:27], 0 offset:1668 ; 4-byte Folded Spill
	s_nop 0
	buffer_store_dword v5, off, s[24:27], 0 offset:1672 ; 4-byte Folded Spill
	buffer_store_dword v6, off, s[24:27], 0 offset:1676 ; 4-byte Folded Spill
	;; [unrolled: 1-line block ×3, first 2 shown]
	v_fma_f64 v[0:1], v[2:3], v[6:7], v[0:1]
	buffer_load_dword v2, off, s[24:27], 0 offset:580 ; 4-byte Folded Reload
	buffer_load_dword v3, off, s[24:27], 0 offset:584 ; 4-byte Folded Reload
	;; [unrolled: 1-line block ×4, first 2 shown]
	s_waitcnt vmcnt(0)
	v_mul_f64 v[2:3], v[8:9], v[4:5]
	ds_read_b128 v[8:11], v255 offset:592
	s_waitcnt lgkmcnt(0)
	buffer_store_dword v8, off, s[24:27], 0 offset:1684 ; 4-byte Folded Spill
	s_nop 0
	buffer_store_dword v9, off, s[24:27], 0 offset:1688 ; 4-byte Folded Spill
	buffer_store_dword v10, off, s[24:27], 0 offset:1692 ; 4-byte Folded Spill
	;; [unrolled: 1-line block ×3, first 2 shown]
	v_mul_f64 v[4:5], v[153:154], v[2:3]
	v_mul_f64 v[4:5], v[239:240], v[4:5]
	;; [unrolled: 1-line block ×4, first 2 shown]
	v_fma_f64 v[0:1], v[10:11], v[6:7], v[0:1]
	ds_read2_b64 v[8:11], v255 offset0:75 offset1:76
	s_waitcnt lgkmcnt(0)
	buffer_store_dword v8, off, s[24:27], 0 offset:1220 ; 4-byte Folded Spill
	s_nop 0
	buffer_store_dword v9, off, s[24:27], 0 offset:1224 ; 4-byte Folded Spill
	buffer_store_dword v10, off, s[24:27], 0 offset:1228 ; 4-byte Folded Spill
	;; [unrolled: 1-line block ×3, first 2 shown]
	v_mul_f64 v[6:7], v[30:31], v[4:5]
	v_mul_f64 v[6:7], v[45:46], v[6:7]
	v_fma_f64 v[0:1], v[10:11], v[6:7], v[0:1]
	ds_read_b128 v[8:11], v255 offset:608
	s_waitcnt lgkmcnt(0)
	buffer_store_dword v8, off, s[24:27], 0 offset:1204 ; 4-byte Folded Spill
	s_nop 0
	buffer_store_dword v9, off, s[24:27], 0 offset:1208 ; 4-byte Folded Spill
	buffer_store_dword v10, off, s[24:27], 0 offset:1212 ; 4-byte Folded Spill
	;; [unrolled: 1-line block ×3, first 2 shown]
	v_mul_f64 v[6:7], v[39:40], v[4:5]
	v_mul_f64 v[6:7], v[49:50], v[6:7]
	v_fma_f64 v[0:1], v[10:11], v[6:7], v[0:1]
	ds_read2_b64 v[8:11], v255 offset0:77 offset1:78
	s_waitcnt lgkmcnt(0)
	buffer_store_dword v8, off, s[24:27], 0 offset:1188 ; 4-byte Folded Spill
	s_nop 0
	buffer_store_dword v9, off, s[24:27], 0 offset:1192 ; 4-byte Folded Spill
	buffer_store_dword v10, off, s[24:27], 0 offset:1196 ; 4-byte Folded Spill
	buffer_store_dword v11, off, s[24:27], 0 offset:1200 ; 4-byte Folded Spill
	v_mul_f64 v[6:7], v[41:42], v[4:5]
	v_mul_f64 v[4:5], v[67:68], v[4:5]
	;; [unrolled: 1-line block ×4, first 2 shown]
	v_fma_f64 v[0:1], v[10:11], v[6:7], v[0:1]
	ds_read_b128 v[6:9], v255 offset:624
	s_waitcnt lgkmcnt(0)
	buffer_store_dword v6, off, s[24:27], 0 offset:1172 ; 4-byte Folded Spill
	s_nop 0
	buffer_store_dword v7, off, s[24:27], 0 offset:1176 ; 4-byte Folded Spill
	buffer_store_dword v8, off, s[24:27], 0 offset:1180 ; 4-byte Folded Spill
	;; [unrolled: 1-line block ×3, first 2 shown]
	v_fma_f64 v[0:1], v[4:5], v[8:9], v[0:1]
	ds_read2_b64 v[8:11], v255 offset0:79 offset1:80
	s_waitcnt lgkmcnt(0)
	buffer_store_dword v8, off, s[24:27], 0 offset:1156 ; 4-byte Folded Spill
	s_nop 0
	buffer_store_dword v9, off, s[24:27], 0 offset:1160 ; 4-byte Folded Spill
	buffer_store_dword v10, off, s[24:27], 0 offset:1164 ; 4-byte Folded Spill
	;; [unrolled: 1-line block ×3, first 2 shown]
	v_mul_f64 v[4:5], v[155:156], v[2:3]
	v_mul_f64 v[4:5], v[69:70], v[4:5]
	;; [unrolled: 1-line block ×4, first 2 shown]
	v_fma_f64 v[0:1], v[6:7], v[10:11], v[0:1]
	ds_read_b128 v[8:11], v255 offset:640
	s_waitcnt lgkmcnt(0)
	buffer_store_dword v8, off, s[24:27], 0 offset:1140 ; 4-byte Folded Spill
	s_nop 0
	buffer_store_dword v9, off, s[24:27], 0 offset:1144 ; 4-byte Folded Spill
	buffer_store_dword v10, off, s[24:27], 0 offset:1148 ; 4-byte Folded Spill
	;; [unrolled: 1-line block ×3, first 2 shown]
	v_mul_f64 v[6:7], v[30:31], v[4:5]
	v_mul_f64 v[6:7], v[45:46], v[6:7]
	v_fma_f64 v[0:1], v[6:7], v[10:11], v[0:1]
	ds_read2_b64 v[8:11], v255 offset0:81 offset1:82
	s_waitcnt lgkmcnt(0)
	buffer_store_dword v8, off, s[24:27], 0 offset:1124 ; 4-byte Folded Spill
	s_nop 0
	buffer_store_dword v9, off, s[24:27], 0 offset:1128 ; 4-byte Folded Spill
	buffer_store_dword v10, off, s[24:27], 0 offset:1132 ; 4-byte Folded Spill
	buffer_store_dword v11, off, s[24:27], 0 offset:1136 ; 4-byte Folded Spill
	v_mul_f64 v[6:7], v[39:40], v[4:5]
	v_mul_f64 v[6:7], v[49:50], v[6:7]
	v_fma_f64 v[0:1], v[6:7], v[10:11], v[0:1]
	ds_read_b128 v[8:11], v255 offset:656
	s_waitcnt lgkmcnt(0)
	buffer_store_dword v8, off, s[24:27], 0 offset:1108 ; 4-byte Folded Spill
	s_nop 0
	buffer_store_dword v9, off, s[24:27], 0 offset:1112 ; 4-byte Folded Spill
	buffer_store_dword v10, off, s[24:27], 0 offset:1116 ; 4-byte Folded Spill
	;; [unrolled: 1-line block ×3, first 2 shown]
	v_mul_f64 v[6:7], v[41:42], v[4:5]
	v_mul_f64 v[4:5], v[67:68], v[4:5]
	;; [unrolled: 1-line block ×4, first 2 shown]
	v_fma_f64 v[0:1], v[6:7], v[10:11], v[0:1]
	ds_read2_b64 v[6:9], v255 offset0:83 offset1:84
	s_waitcnt lgkmcnt(0)
	buffer_store_dword v6, off, s[24:27], 0 offset:1092 ; 4-byte Folded Spill
	s_nop 0
	buffer_store_dword v7, off, s[24:27], 0 offset:1096 ; 4-byte Folded Spill
	buffer_store_dword v8, off, s[24:27], 0 offset:1100 ; 4-byte Folded Spill
	;; [unrolled: 1-line block ×3, first 2 shown]
	v_fma_f64 v[0:1], v[4:5], v[8:9], v[0:1]
	ds_read_b128 v[8:11], v255 offset:672
	s_waitcnt lgkmcnt(0)
	buffer_store_dword v8, off, s[24:27], 0 offset:1076 ; 4-byte Folded Spill
	s_nop 0
	buffer_store_dword v9, off, s[24:27], 0 offset:1080 ; 4-byte Folded Spill
	buffer_store_dword v10, off, s[24:27], 0 offset:1084 ; 4-byte Folded Spill
	;; [unrolled: 1-line block ×3, first 2 shown]
	v_mul_f64 v[4:5], v[161:162], v[2:3]
	v_mul_f64 v[4:5], v[59:60], v[4:5]
	;; [unrolled: 1-line block ×4, first 2 shown]
	v_fma_f64 v[0:1], v[6:7], v[10:11], v[0:1]
	ds_read2_b64 v[8:11], v255 offset0:85 offset1:86
	s_waitcnt lgkmcnt(0)
	buffer_store_dword v8, off, s[24:27], 0 offset:1060 ; 4-byte Folded Spill
	s_nop 0
	buffer_store_dword v9, off, s[24:27], 0 offset:1064 ; 4-byte Folded Spill
	buffer_store_dword v10, off, s[24:27], 0 offset:1068 ; 4-byte Folded Spill
	;; [unrolled: 1-line block ×3, first 2 shown]
	v_mul_f64 v[6:7], v[30:31], v[4:5]
	v_mul_f64 v[6:7], v[45:46], v[6:7]
	v_fma_f64 v[0:1], v[6:7], v[10:11], v[0:1]
	ds_read_b128 v[8:11], v255 offset:688
	s_waitcnt lgkmcnt(0)
	buffer_store_dword v8, off, s[24:27], 0 offset:1044 ; 4-byte Folded Spill
	s_nop 0
	buffer_store_dword v9, off, s[24:27], 0 offset:1048 ; 4-byte Folded Spill
	buffer_store_dword v10, off, s[24:27], 0 offset:1052 ; 4-byte Folded Spill
	;; [unrolled: 1-line block ×3, first 2 shown]
	v_mul_f64 v[6:7], v[39:40], v[4:5]
	v_mul_f64 v[6:7], v[49:50], v[6:7]
	v_fma_f64 v[0:1], v[6:7], v[10:11], v[0:1]
	ds_read2_b64 v[8:11], v255 offset0:87 offset1:88
	s_waitcnt lgkmcnt(0)
	buffer_store_dword v8, off, s[24:27], 0 offset:1012 ; 4-byte Folded Spill
	s_nop 0
	buffer_store_dword v9, off, s[24:27], 0 offset:1016 ; 4-byte Folded Spill
	buffer_store_dword v10, off, s[24:27], 0 offset:1020 ; 4-byte Folded Spill
	;; [unrolled: 1-line block ×3, first 2 shown]
	v_mul_f64 v[6:7], v[41:42], v[4:5]
	v_mul_f64 v[4:5], v[67:68], v[4:5]
	v_mul_f64 v[6:7], v[53:54], v[6:7]
	v_mul_f64 v[4:5], v[57:58], v[4:5]
	v_fma_f64 v[0:1], v[6:7], v[10:11], v[0:1]
	ds_read_b128 v[6:9], v255 offset:704
	s_waitcnt lgkmcnt(0)
	buffer_store_dword v6, off, s[24:27], 0 offset:996 ; 4-byte Folded Spill
	s_nop 0
	buffer_store_dword v7, off, s[24:27], 0 offset:1000 ; 4-byte Folded Spill
	buffer_store_dword v8, off, s[24:27], 0 offset:1004 ; 4-byte Folded Spill
	;; [unrolled: 1-line block ×3, first 2 shown]
	v_fma_f64 v[0:1], v[4:5], v[8:9], v[0:1]
	ds_read2_b64 v[8:11], v255 offset0:89 offset1:90
	s_waitcnt lgkmcnt(0)
	buffer_store_dword v8, off, s[24:27], 0 offset:980 ; 4-byte Folded Spill
	s_nop 0
	buffer_store_dword v9, off, s[24:27], 0 offset:984 ; 4-byte Folded Spill
	buffer_store_dword v10, off, s[24:27], 0 offset:988 ; 4-byte Folded Spill
	;; [unrolled: 1-line block ×3, first 2 shown]
	v_mul_f64 v[4:5], v[163:164], v[2:3]
	v_mul_f64 v[2:3], v[16:17], v[2:3]
	;; [unrolled: 1-line block ×6, first 2 shown]
	v_fma_f64 v[0:1], v[6:7], v[10:11], v[0:1]
	ds_read_b128 v[8:11], v255 offset:720
	s_waitcnt lgkmcnt(0)
	buffer_store_dword v8, off, s[24:27], 0 offset:964 ; 4-byte Folded Spill
	s_nop 0
	buffer_store_dword v9, off, s[24:27], 0 offset:968 ; 4-byte Folded Spill
	buffer_store_dword v10, off, s[24:27], 0 offset:972 ; 4-byte Folded Spill
	;; [unrolled: 1-line block ×3, first 2 shown]
	v_mul_f64 v[6:7], v[30:31], v[4:5]
	v_mul_f64 v[6:7], v[45:46], v[6:7]
	v_fma_f64 v[0:1], v[6:7], v[10:11], v[0:1]
	ds_read2_b64 v[8:11], v255 offset0:91 offset1:92
	s_waitcnt lgkmcnt(0)
	buffer_store_dword v8, off, s[24:27], 0 offset:948 ; 4-byte Folded Spill
	s_nop 0
	buffer_store_dword v9, off, s[24:27], 0 offset:952 ; 4-byte Folded Spill
	buffer_store_dword v10, off, s[24:27], 0 offset:956 ; 4-byte Folded Spill
	buffer_store_dword v11, off, s[24:27], 0 offset:960 ; 4-byte Folded Spill
	v_mul_f64 v[6:7], v[39:40], v[4:5]
	v_mul_f64 v[6:7], v[49:50], v[6:7]
	v_fma_f64 v[0:1], v[6:7], v[10:11], v[0:1]
	ds_read_b128 v[8:11], v255 offset:736
	s_waitcnt lgkmcnt(0)
	buffer_store_dword v8, off, s[24:27], 0 offset:932 ; 4-byte Folded Spill
	s_nop 0
	buffer_store_dword v9, off, s[24:27], 0 offset:936 ; 4-byte Folded Spill
	buffer_store_dword v10, off, s[24:27], 0 offset:940 ; 4-byte Folded Spill
	;; [unrolled: 1-line block ×3, first 2 shown]
	v_mul_f64 v[6:7], v[41:42], v[4:5]
	v_mul_f64 v[4:5], v[67:68], v[4:5]
	;; [unrolled: 1-line block ×4, first 2 shown]
	v_fma_f64 v[0:1], v[6:7], v[10:11], v[0:1]
	ds_read2_b64 v[6:9], v255 offset0:93 offset1:94
	s_waitcnt lgkmcnt(0)
	buffer_store_dword v6, off, s[24:27], 0 offset:916 ; 4-byte Folded Spill
	s_nop 0
	buffer_store_dword v7, off, s[24:27], 0 offset:920 ; 4-byte Folded Spill
	buffer_store_dword v8, off, s[24:27], 0 offset:924 ; 4-byte Folded Spill
	;; [unrolled: 1-line block ×3, first 2 shown]
	v_fma_f64 v[0:1], v[4:5], v[8:9], v[0:1]
	ds_read_b128 v[6:9], v255 offset:752
	s_waitcnt lgkmcnt(0)
	buffer_store_dword v6, off, s[24:27], 0 offset:900 ; 4-byte Folded Spill
	s_nop 0
	buffer_store_dword v7, off, s[24:27], 0 offset:904 ; 4-byte Folded Spill
	buffer_store_dword v8, off, s[24:27], 0 offset:908 ; 4-byte Folded Spill
	;; [unrolled: 1-line block ×3, first 2 shown]
	v_mul_f64 v[4:5], v[28:29], v[2:3]
	v_mul_f64 v[4:5], v[34:35], v[4:5]
	v_fma_f64 v[0:1], v[4:5], v[8:9], v[0:1]
	ds_read2_b64 v[6:9], v255 offset0:95 offset1:96
	s_waitcnt lgkmcnt(0)
	buffer_store_dword v6, off, s[24:27], 0 offset:884 ; 4-byte Folded Spill
	s_nop 0
	buffer_store_dword v7, off, s[24:27], 0 offset:888 ; 4-byte Folded Spill
	buffer_store_dword v8, off, s[24:27], 0 offset:892 ; 4-byte Folded Spill
	;; [unrolled: 1-line block ×3, first 2 shown]
	v_mul_f64 v[4:5], v[30:31], v[2:3]
	v_mul_f64 v[4:5], v[45:46], v[4:5]
	v_fma_f64 v[0:1], v[4:5], v[8:9], v[0:1]
	ds_read_b128 v[6:9], v255 offset:768
	s_waitcnt lgkmcnt(0)
	buffer_store_dword v6, off, s[24:27], 0 offset:868 ; 4-byte Folded Spill
	s_nop 0
	buffer_store_dword v7, off, s[24:27], 0 offset:872 ; 4-byte Folded Spill
	buffer_store_dword v8, off, s[24:27], 0 offset:876 ; 4-byte Folded Spill
	;; [unrolled: 1-line block ×3, first 2 shown]
	v_mul_f64 v[4:5], v[39:40], v[2:3]
	v_mul_f64 v[4:5], v[49:50], v[4:5]
	v_fma_f64 v[0:1], v[4:5], v[8:9], v[0:1]
	ds_read2_b64 v[6:9], v255 offset0:97 offset1:98
	s_waitcnt lgkmcnt(0)
	buffer_store_dword v6, off, s[24:27], 0 offset:852 ; 4-byte Folded Spill
	s_nop 0
	buffer_store_dword v7, off, s[24:27], 0 offset:856 ; 4-byte Folded Spill
	buffer_store_dword v8, off, s[24:27], 0 offset:860 ; 4-byte Folded Spill
	;; [unrolled: 1-line block ×3, first 2 shown]
	v_mul_f64 v[4:5], v[41:42], v[2:3]
	v_mul_f64 v[2:3], v[67:68], v[2:3]
	;; [unrolled: 1-line block ×4, first 2 shown]
	v_fma_f64 v[0:1], v[4:5], v[8:9], v[0:1]
	ds_read_b128 v[4:7], v255 offset:784
	s_waitcnt lgkmcnt(0)
	buffer_store_dword v4, off, s[24:27], 0 offset:836 ; 4-byte Folded Spill
	s_nop 0
	buffer_store_dword v5, off, s[24:27], 0 offset:840 ; 4-byte Folded Spill
	buffer_store_dword v6, off, s[24:27], 0 offset:844 ; 4-byte Folded Spill
	;; [unrolled: 1-line block ×3, first 2 shown]
	v_fma_f64 v[0:1], v[2:3], v[6:7], v[0:1]
	ds_read2_b64 v[2:5], v36 offset0:12 offset1:16
	s_waitcnt lgkmcnt(0)
	buffer_store_dword v2, off, s[24:27], 0 offset:1284 ; 4-byte Folded Spill
	s_nop 0
	buffer_store_dword v3, off, s[24:27], 0 offset:1288 ; 4-byte Folded Spill
	buffer_store_dword v4, off, s[24:27], 0 offset:1292 ; 4-byte Folded Spill
	;; [unrolled: 1-line block ×3, first 2 shown]
	buffer_load_dword v6, off, s[24:27], 0 offset:564 ; 4-byte Folded Reload
	buffer_load_dword v7, off, s[24:27], 0 offset:568 ; 4-byte Folded Reload
	;; [unrolled: 1-line block ×4, first 2 shown]
	s_waitcnt vmcnt(0)
	v_mul_f64 v[2:3], v[4:5], v[8:9]
	ds_read2_b64 v[8:11], v255 offset0:99 offset1:100
	s_waitcnt lgkmcnt(0)
	buffer_store_dword v8, off, s[24:27], 0 offset:820 ; 4-byte Folded Spill
	s_nop 0
	buffer_store_dword v9, off, s[24:27], 0 offset:824 ; 4-byte Folded Spill
	buffer_store_dword v10, off, s[24:27], 0 offset:828 ; 4-byte Folded Spill
	buffer_store_dword v11, off, s[24:27], 0 offset:832 ; 4-byte Folded Spill
	v_mul_f64 v[4:5], v[153:154], v[2:3]
	v_mul_f64 v[4:5], v[239:240], v[4:5]
	v_mul_f64 v[6:7], v[28:29], v[4:5]
	v_mul_f64 v[6:7], v[34:35], v[6:7]
	v_fma_f64 v[0:1], v[10:11], v[6:7], v[0:1]
	ds_read_b128 v[8:11], v255 offset:800
	s_waitcnt lgkmcnt(0)
	buffer_store_dword v8, off, s[24:27], 0 offset:804 ; 4-byte Folded Spill
	s_nop 0
	buffer_store_dword v9, off, s[24:27], 0 offset:808 ; 4-byte Folded Spill
	buffer_store_dword v10, off, s[24:27], 0 offset:812 ; 4-byte Folded Spill
	;; [unrolled: 1-line block ×3, first 2 shown]
	v_mul_f64 v[6:7], v[30:31], v[4:5]
	v_mul_f64 v[6:7], v[45:46], v[6:7]
	v_fma_f64 v[0:1], v[10:11], v[6:7], v[0:1]
	ds_read2_b64 v[8:11], v255 offset0:101 offset1:102
	s_waitcnt lgkmcnt(0)
	buffer_store_dword v8, off, s[24:27], 0 offset:788 ; 4-byte Folded Spill
	s_nop 0
	buffer_store_dword v9, off, s[24:27], 0 offset:792 ; 4-byte Folded Spill
	buffer_store_dword v10, off, s[24:27], 0 offset:796 ; 4-byte Folded Spill
	buffer_store_dword v11, off, s[24:27], 0 offset:800 ; 4-byte Folded Spill
	v_mul_f64 v[6:7], v[39:40], v[4:5]
	v_mul_f64 v[6:7], v[49:50], v[6:7]
	v_fma_f64 v[0:1], v[10:11], v[6:7], v[0:1]
	ds_read_b128 v[8:11], v255 offset:816
	s_waitcnt lgkmcnt(0)
	buffer_store_dword v8, off, s[24:27], 0 offset:772 ; 4-byte Folded Spill
	s_nop 0
	buffer_store_dword v9, off, s[24:27], 0 offset:776 ; 4-byte Folded Spill
	buffer_store_dword v10, off, s[24:27], 0 offset:780 ; 4-byte Folded Spill
	;; [unrolled: 1-line block ×3, first 2 shown]
	v_mul_f64 v[6:7], v[41:42], v[4:5]
	v_mul_f64 v[4:5], v[67:68], v[4:5]
	;; [unrolled: 1-line block ×4, first 2 shown]
	v_fma_f64 v[0:1], v[10:11], v[6:7], v[0:1]
	ds_read2_b64 v[6:9], v255 offset0:103 offset1:104
	s_waitcnt lgkmcnt(0)
	buffer_store_dword v6, off, s[24:27], 0 offset:756 ; 4-byte Folded Spill
	s_nop 0
	buffer_store_dword v7, off, s[24:27], 0 offset:760 ; 4-byte Folded Spill
	buffer_store_dword v8, off, s[24:27], 0 offset:764 ; 4-byte Folded Spill
	;; [unrolled: 1-line block ×3, first 2 shown]
	v_fma_f64 v[0:1], v[4:5], v[8:9], v[0:1]
	ds_read_b128 v[8:11], v255 offset:832
	s_waitcnt lgkmcnt(0)
	buffer_store_dword v8, off, s[24:27], 0 offset:740 ; 4-byte Folded Spill
	s_nop 0
	buffer_store_dword v9, off, s[24:27], 0 offset:744 ; 4-byte Folded Spill
	buffer_store_dword v10, off, s[24:27], 0 offset:748 ; 4-byte Folded Spill
	;; [unrolled: 1-line block ×3, first 2 shown]
	v_mul_f64 v[4:5], v[155:156], v[2:3]
	v_mul_f64 v[4:5], v[69:70], v[4:5]
	;; [unrolled: 1-line block ×4, first 2 shown]
	v_fma_f64 v[0:1], v[6:7], v[10:11], v[0:1]
	ds_read2_b64 v[8:11], v255 offset0:105 offset1:106
	s_waitcnt lgkmcnt(0)
	buffer_store_dword v8, off, s[24:27], 0 offset:724 ; 4-byte Folded Spill
	s_nop 0
	buffer_store_dword v9, off, s[24:27], 0 offset:728 ; 4-byte Folded Spill
	buffer_store_dword v10, off, s[24:27], 0 offset:732 ; 4-byte Folded Spill
	;; [unrolled: 1-line block ×3, first 2 shown]
	v_mul_f64 v[6:7], v[30:31], v[4:5]
	v_mul_f64 v[6:7], v[45:46], v[6:7]
	v_fma_f64 v[0:1], v[6:7], v[10:11], v[0:1]
	ds_read_b128 v[8:11], v255 offset:848
	s_waitcnt lgkmcnt(0)
	buffer_store_dword v8, off, s[24:27], 0 offset:708 ; 4-byte Folded Spill
	s_nop 0
	buffer_store_dword v9, off, s[24:27], 0 offset:712 ; 4-byte Folded Spill
	buffer_store_dword v10, off, s[24:27], 0 offset:716 ; 4-byte Folded Spill
	;; [unrolled: 1-line block ×3, first 2 shown]
	v_mul_f64 v[6:7], v[39:40], v[4:5]
	v_mul_f64 v[6:7], v[49:50], v[6:7]
	v_fma_f64 v[0:1], v[6:7], v[10:11], v[0:1]
	ds_read2_b64 v[8:11], v255 offset0:107 offset1:108
	s_waitcnt lgkmcnt(0)
	buffer_store_dword v8, off, s[24:27], 0 offset:692 ; 4-byte Folded Spill
	s_nop 0
	buffer_store_dword v9, off, s[24:27], 0 offset:696 ; 4-byte Folded Spill
	buffer_store_dword v10, off, s[24:27], 0 offset:700 ; 4-byte Folded Spill
	;; [unrolled: 1-line block ×3, first 2 shown]
	v_mul_f64 v[6:7], v[41:42], v[4:5]
	v_mul_f64 v[4:5], v[67:68], v[4:5]
	;; [unrolled: 1-line block ×4, first 2 shown]
	v_fma_f64 v[0:1], v[6:7], v[10:11], v[0:1]
	ds_read_b128 v[6:9], v255 offset:864
	s_waitcnt lgkmcnt(0)
	buffer_store_dword v6, off, s[24:27], 0 offset:676 ; 4-byte Folded Spill
	s_nop 0
	buffer_store_dword v7, off, s[24:27], 0 offset:680 ; 4-byte Folded Spill
	buffer_store_dword v8, off, s[24:27], 0 offset:684 ; 4-byte Folded Spill
	;; [unrolled: 1-line block ×3, first 2 shown]
	v_fma_f64 v[0:1], v[4:5], v[8:9], v[0:1]
	ds_read2_b64 v[8:11], v255 offset0:109 offset1:110
	s_waitcnt lgkmcnt(0)
	buffer_store_dword v8, off, s[24:27], 0 offset:660 ; 4-byte Folded Spill
	s_nop 0
	buffer_store_dword v9, off, s[24:27], 0 offset:664 ; 4-byte Folded Spill
	buffer_store_dword v10, off, s[24:27], 0 offset:668 ; 4-byte Folded Spill
	;; [unrolled: 1-line block ×3, first 2 shown]
	v_mul_f64 v[4:5], v[161:162], v[2:3]
	v_mul_f64 v[4:5], v[59:60], v[4:5]
	;; [unrolled: 1-line block ×4, first 2 shown]
	v_fma_f64 v[0:1], v[6:7], v[10:11], v[0:1]
	ds_read_b128 v[8:11], v255 offset:880
	s_waitcnt lgkmcnt(0)
	buffer_store_dword v8, off, s[24:27], 0 offset:644 ; 4-byte Folded Spill
	s_nop 0
	buffer_store_dword v9, off, s[24:27], 0 offset:648 ; 4-byte Folded Spill
	buffer_store_dword v10, off, s[24:27], 0 offset:652 ; 4-byte Folded Spill
	;; [unrolled: 1-line block ×3, first 2 shown]
	v_mul_f64 v[6:7], v[30:31], v[4:5]
	v_mul_f64 v[6:7], v[45:46], v[6:7]
	v_fma_f64 v[0:1], v[6:7], v[10:11], v[0:1]
	ds_read2_b64 v[8:11], v255 offset0:111 offset1:112
	s_waitcnt lgkmcnt(0)
	buffer_store_dword v8, off, s[24:27], 0 offset:628 ; 4-byte Folded Spill
	s_nop 0
	buffer_store_dword v9, off, s[24:27], 0 offset:632 ; 4-byte Folded Spill
	buffer_store_dword v10, off, s[24:27], 0 offset:636 ; 4-byte Folded Spill
	;; [unrolled: 1-line block ×3, first 2 shown]
	v_mul_f64 v[6:7], v[39:40], v[4:5]
	v_mul_f64 v[6:7], v[49:50], v[6:7]
	v_fma_f64 v[0:1], v[6:7], v[10:11], v[0:1]
	ds_read_b128 v[8:11], v255 offset:896
	s_waitcnt lgkmcnt(0)
	buffer_store_dword v8, off, s[24:27], 0 offset:612 ; 4-byte Folded Spill
	s_nop 0
	buffer_store_dword v9, off, s[24:27], 0 offset:616 ; 4-byte Folded Spill
	buffer_store_dword v10, off, s[24:27], 0 offset:620 ; 4-byte Folded Spill
	;; [unrolled: 1-line block ×3, first 2 shown]
	v_mul_f64 v[6:7], v[41:42], v[4:5]
	v_mul_f64 v[4:5], v[67:68], v[4:5]
	ds_read_b128 v[225:228], v255 offset:912
	ds_read2_b64 v[205:208], v255 offset0:115 offset1:116
	v_mul_f64 v[6:7], v[53:54], v[6:7]
	v_mul_f64 v[4:5], v[57:58], v[4:5]
	v_fma_f64 v[0:1], v[6:7], v[10:11], v[0:1]
	ds_read2_b64 v[6:9], v255 offset0:113 offset1:114
	s_waitcnt lgkmcnt(0)
	v_mov_b32_e32 v232, v7
	v_mov_b32_e32 v231, v6
	v_fma_f64 v[0:1], v[4:5], v[8:9], v[0:1]
	ds_read_b128 v[8:11], v255 offset:928
	s_waitcnt lgkmcnt(0)
	buffer_store_dword v8, off, s[24:27], 0 offset:2132 ; 4-byte Folded Spill
	s_nop 0
	buffer_store_dword v9, off, s[24:27], 0 offset:2136 ; 4-byte Folded Spill
	buffer_store_dword v10, off, s[24:27], 0 offset:2140 ; 4-byte Folded Spill
	;; [unrolled: 1-line block ×3, first 2 shown]
	v_mul_f64 v[4:5], v[163:164], v[2:3]
	v_mul_f64 v[2:3], v[16:17], v[2:3]
	;; [unrolled: 1-line block ×6, first 2 shown]
	v_fma_f64 v[0:1], v[6:7], v[227:228], v[0:1]
	v_mul_f64 v[6:7], v[30:31], v[4:5]
	v_mul_f64 v[6:7], v[45:46], v[6:7]
	v_fma_f64 v[0:1], v[6:7], v[207:208], v[0:1]
	v_mul_f64 v[6:7], v[39:40], v[4:5]
	v_mul_f64 v[6:7], v[49:50], v[6:7]
	v_fma_f64 v[0:1], v[6:7], v[10:11], v[0:1]
	ds_read2_b64 v[8:11], v255 offset0:117 offset1:118
	s_waitcnt lgkmcnt(0)
	buffer_store_dword v8, off, s[24:27], 0 offset:1268 ; 4-byte Folded Spill
	s_nop 0
	buffer_store_dword v9, off, s[24:27], 0 offset:1272 ; 4-byte Folded Spill
	buffer_store_dword v10, off, s[24:27], 0 offset:1276 ; 4-byte Folded Spill
	buffer_store_dword v11, off, s[24:27], 0 offset:1280 ; 4-byte Folded Spill
	v_mul_f64 v[6:7], v[41:42], v[4:5]
	v_mul_f64 v[4:5], v[67:68], v[4:5]
	;; [unrolled: 1-line block ×4, first 2 shown]
	v_fma_f64 v[0:1], v[6:7], v[10:11], v[0:1]
	ds_read_b128 v[6:9], v255 offset:944
	s_waitcnt lgkmcnt(0)
	buffer_store_dword v6, off, s[24:27], 0 offset:1252 ; 4-byte Folded Spill
	s_nop 0
	buffer_store_dword v7, off, s[24:27], 0 offset:1256 ; 4-byte Folded Spill
	buffer_store_dword v8, off, s[24:27], 0 offset:1260 ; 4-byte Folded Spill
	buffer_store_dword v9, off, s[24:27], 0 offset:1264 ; 4-byte Folded Spill
	v_fma_f64 v[0:1], v[4:5], v[8:9], v[0:1]
	ds_read2_b64 v[6:9], v255 offset0:119 offset1:120
	s_waitcnt lgkmcnt(0)
	buffer_store_dword v6, off, s[24:27], 0 offset:1236 ; 4-byte Folded Spill
	s_nop 0
	buffer_store_dword v7, off, s[24:27], 0 offset:1240 ; 4-byte Folded Spill
	buffer_store_dword v8, off, s[24:27], 0 offset:1244 ; 4-byte Folded Spill
	;; [unrolled: 1-line block ×3, first 2 shown]
	v_mul_f64 v[4:5], v[28:29], v[2:3]
	v_mul_f64 v[4:5], v[34:35], v[4:5]
	v_fma_f64 v[0:1], v[4:5], v[8:9], v[0:1]
	ds_read_b128 v[6:9], v255 offset:960
	s_waitcnt lgkmcnt(0)
	buffer_store_dword v6, off, s[24:27], 0 offset:1028 ; 4-byte Folded Spill
	s_nop 0
	buffer_store_dword v7, off, s[24:27], 0 offset:1032 ; 4-byte Folded Spill
	buffer_store_dword v8, off, s[24:27], 0 offset:1036 ; 4-byte Folded Spill
	;; [unrolled: 1-line block ×3, first 2 shown]
	v_mul_f64 v[4:5], v[30:31], v[2:3]
	v_mul_f64 v[4:5], v[45:46], v[4:5]
	v_fma_f64 v[0:1], v[4:5], v[8:9], v[0:1]
	ds_read2_b64 v[6:9], v255 offset0:121 offset1:122
	s_waitcnt lgkmcnt(0)
	buffer_store_dword v6, off, s[24:27], 0 offset:2844 ; 4-byte Folded Spill
	s_nop 0
	buffer_store_dword v7, off, s[24:27], 0 offset:2848 ; 4-byte Folded Spill
	buffer_store_dword v8, off, s[24:27], 0 offset:2852 ; 4-byte Folded Spill
	;; [unrolled: 1-line block ×3, first 2 shown]
	v_mul_f64 v[4:5], v[39:40], v[2:3]
	v_mul_f64 v[4:5], v[49:50], v[4:5]
	v_fma_f64 v[0:1], v[4:5], v[8:9], v[0:1]
	v_mul_f64 v[4:5], v[41:42], v[2:3]
	ds_read_b128 v[6:9], v255 offset:976
	v_mul_f64 v[2:3], v[67:68], v[2:3]
	v_add_co_u32_e32 v67, vcc, s5, v55
	v_addc_co_u32_e32 v68, vcc, 0, v56, vcc
	s_waitcnt lgkmcnt(0)
	v_mov_b32_e32 v166, v7
	v_mul_f64 v[4:5], v[53:54], v[4:5]
	v_mov_b32_e32 v165, v6
	v_mul_f64 v[2:3], v[57:58], v[2:3]
	v_add_co_u32_e32 v134, vcc, s9, v55
	v_addc_co_u32_e32 v135, vcc, 0, v56, vcc
	v_fma_f64 v[0:1], v[4:5], v[8:9], v[0:1]
	ds_read2_b64 v[4:7], v255 offset0:123 offset1:124
	s_waitcnt lgkmcnt(0)
	buffer_store_dword v4, off, s[24:27], 0 offset:2812 ; 4-byte Folded Spill
	s_nop 0
	buffer_store_dword v5, off, s[24:27], 0 offset:2816 ; 4-byte Folded Spill
	buffer_store_dword v6, off, s[24:27], 0 offset:2820 ; 4-byte Folded Spill
	;; [unrolled: 1-line block ×3, first 2 shown]
	buffer_load_dword v131, off, s[24:27], s10 ; 4-byte Folded Reload
	s_mov_b32 s10, 0x43b00
	v_fma_f64 v[0:1], v[2:3], v[6:7], v[0:1]
	global_store_dwordx2 v[134:135], v[0:1], off offset:-4096
	s_waitcnt vmcnt(1)
	ds_read_b64 v[11:12], v131
	ds_read2_b64 v[167:170], v255 offset0:124 offset1:126
	ds_read2_b64 v[195:198], v131 offset1:4
	ds_read2_b64 v[191:194], v255 offset0:129 offset1:130
	ds_read2_b64 v[187:190], v131 offset0:4 offset1:8
	;; [unrolled: 1-line block ×7, first 2 shown]
	buffer_load_dword v132, off, s[24:27], s10 ; 4-byte Folded Reload
	s_waitcnt vmcnt(0)
	ds_read_b64 v[13:14], v132
	ds_read_b128 v[93:96], v255 offset:1008
	ds_read2_b64 v[27:30], v132 offset1:4
	ds_read_b128 v[89:92], v255 offset:1040
	ds_read2_b64 v[23:26], v132 offset0:4 offset1:8
	ds_read_b128 v[85:88], v255 offset:1072
	ds_read2_b64 v[19:22], v132 offset0:8 offset1:12
	;; [unrolled: 2-line block ×3, first 2 shown]
	ds_read_b128 v[77:80], v255 offset:1136
	ds_read_b64 v[0:1], v36
	ds_read2_b64 v[47:50], v36 offset1:4
	s_waitcnt lgkmcnt(0)
	buffer_store_dword v47, off, s[24:27], 0 offset:2828 ; 4-byte Folded Spill
	s_nop 0
	buffer_store_dword v48, off, s[24:27], 0 offset:2832 ; 4-byte Folded Spill
	buffer_store_dword v49, off, s[24:27], 0 offset:2836 ; 4-byte Folded Spill
	;; [unrolled: 1-line block ×3, first 2 shown]
	s_mov_b32 s10, 0x42b00
	buffer_load_dword v136, off, s[24:27], s10 ; 4-byte Folded Reload
	s_waitcnt vmcnt(0)
	ds_read_b64 v[2:3], v136
	ds_read_b64 v[4:5], v136 offset:32
	ds_read_b64 v[8:9], v255
	ds_read_b128 v[43:46], v255
	s_waitcnt lgkmcnt(0)
	buffer_store_dword v43, off, s[24:27], 0 offset:2788 ; 4-byte Folded Spill
	s_nop 0
	buffer_store_dword v44, off, s[24:27], 0 offset:2792 ; 4-byte Folded Spill
	buffer_store_dword v45, off, s[24:27], 0 offset:2796 ; 4-byte Folded Spill
	;; [unrolled: 1-line block ×3, first 2 shown]
	v_mul_f64 v[0:1], v[0:1], v[2:3]
	ds_read_b128 v[41:44], v255 offset:16
	s_waitcnt lgkmcnt(0)
	buffer_store_dword v41, off, s[24:27], 0 offset:2740 ; 4-byte Folded Spill
	s_nop 0
	buffer_store_dword v42, off, s[24:27], 0 offset:2744 ; 4-byte Folded Spill
	buffer_store_dword v43, off, s[24:27], 0 offset:2748 ; 4-byte Folded Spill
	;; [unrolled: 1-line block ×3, first 2 shown]
	ds_read_b128 v[39:42], v255 offset:32
	v_mul_f64 v[2:3], v[13:14], v[0:1]
	s_waitcnt lgkmcnt(0)
	buffer_store_dword v39, off, s[24:27], 0 offset:2196 ; 4-byte Folded Spill
	s_nop 0
	buffer_store_dword v40, off, s[24:27], 0 offset:2200 ; 4-byte Folded Spill
	buffer_store_dword v41, off, s[24:27], 0 offset:2204 ; 4-byte Folded Spill
	buffer_store_dword v42, off, s[24:27], 0 offset:2208 ; 4-byte Folded Spill
	ds_read_b128 v[31:34], v255 offset:48
	s_waitcnt lgkmcnt(0)
	buffer_store_dword v31, off, s[24:27], 0 offset:2164 ; 4-byte Folded Spill
	s_nop 0
	buffer_store_dword v32, off, s[24:27], 0 offset:2168 ; 4-byte Folded Spill
	buffer_store_dword v33, off, s[24:27], 0 offset:2172 ; 4-byte Folded Spill
	;; [unrolled: 1-line block ×3, first 2 shown]
	v_mul_f64 v[2:3], v[95:96], v[2:3]
	s_mov_b32 s10, 0x42c00
	v_mul_f64 v[6:7], v[11:12], v[2:3]
	v_mul_f64 v[6:7], v[169:170], v[6:7]
	v_fma_f64 v[6:7], v[8:9], v[6:7], 0
	v_mul_f64 v[8:9], v[197:198], v[2:3]
	v_mul_f64 v[8:9], v[193:194], v[8:9]
	v_fma_f64 v[6:7], v[45:46], v[8:9], v[6:7]
	ds_read2_b64 v[45:48], v255 offset0:1 offset1:2
	s_waitcnt lgkmcnt(0)
	buffer_store_dword v45, off, s[24:27], 0 offset:2772 ; 4-byte Folded Spill
	s_nop 0
	buffer_store_dword v46, off, s[24:27], 0 offset:2776 ; 4-byte Folded Spill
	buffer_store_dword v47, off, s[24:27], 0 offset:2780 ; 4-byte Folded Spill
	;; [unrolled: 1-line block ×3, first 2 shown]
	v_mul_f64 v[8:9], v[189:190], v[2:3]
	v_mul_f64 v[8:9], v[185:186], v[8:9]
	v_fma_f64 v[6:7], v[47:48], v[8:9], v[6:7]
	v_mul_f64 v[8:9], v[181:182], v[2:3]
	v_mul_f64 v[2:3], v[173:174], v[2:3]
	;; [unrolled: 1-line block ×4, first 2 shown]
	v_fma_f64 v[6:7], v[43:44], v[8:9], v[6:7]
	ds_read2_b64 v[43:46], v255 offset0:3 offset1:4
	s_waitcnt lgkmcnt(0)
	buffer_store_dword v43, off, s[24:27], 0 offset:2148 ; 4-byte Folded Spill
	s_nop 0
	buffer_store_dword v44, off, s[24:27], 0 offset:2152 ; 4-byte Folded Spill
	buffer_store_dword v45, off, s[24:27], 0 offset:2156 ; 4-byte Folded Spill
	;; [unrolled: 1-line block ×3, first 2 shown]
	v_fma_f64 v[2:3], v[2:3], v[45:46], v[6:7]
	v_mul_f64 v[6:7], v[29:30], v[0:1]
	v_mul_f64 v[6:7], v[91:92], v[6:7]
	;; [unrolled: 1-line block ×4, first 2 shown]
	v_fma_f64 v[2:3], v[8:9], v[41:42], v[2:3]
	ds_read2_b64 v[39:42], v255 offset0:5 offset1:6
	s_waitcnt lgkmcnt(0)
	buffer_store_dword v39, off, s[24:27], 0 offset:2180 ; 4-byte Folded Spill
	s_nop 0
	buffer_store_dword v40, off, s[24:27], 0 offset:2184 ; 4-byte Folded Spill
	buffer_store_dword v41, off, s[24:27], 0 offset:2188 ; 4-byte Folded Spill
	;; [unrolled: 1-line block ×3, first 2 shown]
	v_mul_f64 v[8:9], v[197:198], v[6:7]
	v_mul_f64 v[8:9], v[193:194], v[8:9]
	v_fma_f64 v[2:3], v[8:9], v[41:42], v[2:3]
	v_mul_f64 v[8:9], v[189:190], v[6:7]
	v_mul_f64 v[8:9], v[185:186], v[8:9]
	v_fma_f64 v[2:3], v[8:9], v[33:34], v[2:3]
	ds_read2_b64 v[31:34], v255 offset0:7 offset1:8
	s_waitcnt lgkmcnt(0)
	buffer_store_dword v31, off, s[24:27], 0 offset:2212 ; 4-byte Folded Spill
	s_nop 0
	buffer_store_dword v32, off, s[24:27], 0 offset:2216 ; 4-byte Folded Spill
	buffer_store_dword v33, off, s[24:27], 0 offset:2220 ; 4-byte Folded Spill
	;; [unrolled: 1-line block ×3, first 2 shown]
	v_mul_f64 v[8:9], v[181:182], v[6:7]
	v_mul_f64 v[6:7], v[173:174], v[6:7]
	;; [unrolled: 1-line block ×4, first 2 shown]
	v_fma_f64 v[2:3], v[8:9], v[33:34], v[2:3]
	ds_read_b128 v[31:34], v255 offset:64
	s_waitcnt lgkmcnt(0)
	buffer_store_dword v31, off, s[24:27], 0 offset:2228 ; 4-byte Folded Spill
	s_nop 0
	buffer_store_dword v32, off, s[24:27], 0 offset:2232 ; 4-byte Folded Spill
	buffer_store_dword v33, off, s[24:27], 0 offset:2236 ; 4-byte Folded Spill
	;; [unrolled: 1-line block ×3, first 2 shown]
	v_fma_f64 v[2:3], v[6:7], v[33:34], v[2:3]
	ds_read2_b64 v[31:34], v255 offset0:9 offset1:10
	s_waitcnt lgkmcnt(0)
	buffer_store_dword v31, off, s[24:27], 0 offset:2260 ; 4-byte Folded Spill
	s_nop 0
	buffer_store_dword v32, off, s[24:27], 0 offset:2264 ; 4-byte Folded Spill
	buffer_store_dword v33, off, s[24:27], 0 offset:2268 ; 4-byte Folded Spill
	;; [unrolled: 1-line block ×3, first 2 shown]
	v_mul_f64 v[6:7], v[25:26], v[0:1]
	v_mul_f64 v[6:7], v[87:88], v[6:7]
	;; [unrolled: 1-line block ×4, first 2 shown]
	v_fma_f64 v[2:3], v[8:9], v[33:34], v[2:3]
	ds_read_b128 v[31:34], v255 offset:80
	s_waitcnt lgkmcnt(0)
	buffer_store_dword v31, off, s[24:27], 0 offset:2244 ; 4-byte Folded Spill
	s_nop 0
	buffer_store_dword v32, off, s[24:27], 0 offset:2248 ; 4-byte Folded Spill
	buffer_store_dword v33, off, s[24:27], 0 offset:2252 ; 4-byte Folded Spill
	;; [unrolled: 1-line block ×3, first 2 shown]
	v_mul_f64 v[8:9], v[197:198], v[6:7]
	v_mul_f64 v[8:9], v[193:194], v[8:9]
	v_fma_f64 v[2:3], v[8:9], v[33:34], v[2:3]
	ds_read2_b64 v[31:34], v255 offset0:11 offset1:12
	s_waitcnt lgkmcnt(0)
	buffer_store_dword v31, off, s[24:27], 0 offset:2276 ; 4-byte Folded Spill
	s_nop 0
	buffer_store_dword v32, off, s[24:27], 0 offset:2280 ; 4-byte Folded Spill
	buffer_store_dword v33, off, s[24:27], 0 offset:2284 ; 4-byte Folded Spill
	buffer_store_dword v34, off, s[24:27], 0 offset:2288 ; 4-byte Folded Spill
	v_mul_f64 v[8:9], v[189:190], v[6:7]
	v_mul_f64 v[8:9], v[185:186], v[8:9]
	v_fma_f64 v[2:3], v[8:9], v[33:34], v[2:3]
	ds_read_b128 v[31:34], v255 offset:96
	s_waitcnt lgkmcnt(0)
	buffer_store_dword v31, off, s[24:27], 0 offset:2548 ; 4-byte Folded Spill
	s_nop 0
	buffer_store_dword v32, off, s[24:27], 0 offset:2552 ; 4-byte Folded Spill
	buffer_store_dword v33, off, s[24:27], 0 offset:2556 ; 4-byte Folded Spill
	;; [unrolled: 1-line block ×3, first 2 shown]
	v_mul_f64 v[8:9], v[181:182], v[6:7]
	v_mul_f64 v[6:7], v[173:174], v[6:7]
	;; [unrolled: 1-line block ×4, first 2 shown]
	v_fma_f64 v[2:3], v[8:9], v[33:34], v[2:3]
	ds_read2_b64 v[31:34], v255 offset0:13 offset1:14
	s_waitcnt lgkmcnt(0)
	buffer_store_dword v31, off, s[24:27], 0 offset:2564 ; 4-byte Folded Spill
	s_nop 0
	buffer_store_dword v32, off, s[24:27], 0 offset:2568 ; 4-byte Folded Spill
	buffer_store_dword v33, off, s[24:27], 0 offset:2572 ; 4-byte Folded Spill
	buffer_store_dword v34, off, s[24:27], 0 offset:2576 ; 4-byte Folded Spill
	v_fma_f64 v[2:3], v[6:7], v[33:34], v[2:3]
	ds_read_b128 v[31:34], v255 offset:112
	s_waitcnt lgkmcnt(0)
	buffer_store_dword v31, off, s[24:27], 0 offset:2596 ; 4-byte Folded Spill
	s_nop 0
	buffer_store_dword v32, off, s[24:27], 0 offset:2600 ; 4-byte Folded Spill
	buffer_store_dword v33, off, s[24:27], 0 offset:2604 ; 4-byte Folded Spill
	;; [unrolled: 1-line block ×3, first 2 shown]
	v_mul_f64 v[6:7], v[21:22], v[0:1]
	v_mul_f64 v[0:1], v[17:18], v[0:1]
	;; [unrolled: 1-line block ×6, first 2 shown]
	v_fma_f64 v[2:3], v[8:9], v[33:34], v[2:3]
	ds_read2_b64 v[31:34], v255 offset0:15 offset1:16
	s_waitcnt lgkmcnt(0)
	buffer_store_dword v31, off, s[24:27], 0 offset:2580 ; 4-byte Folded Spill
	s_nop 0
	buffer_store_dword v32, off, s[24:27], 0 offset:2584 ; 4-byte Folded Spill
	buffer_store_dword v33, off, s[24:27], 0 offset:2588 ; 4-byte Folded Spill
	;; [unrolled: 1-line block ×3, first 2 shown]
	v_mul_f64 v[8:9], v[197:198], v[6:7]
	v_mul_f64 v[8:9], v[193:194], v[8:9]
	v_fma_f64 v[2:3], v[8:9], v[33:34], v[2:3]
	ds_read_b128 v[31:34], v255 offset:128
	s_waitcnt lgkmcnt(0)
	buffer_store_dword v31, off, s[24:27], 0 offset:2612 ; 4-byte Folded Spill
	s_nop 0
	buffer_store_dword v32, off, s[24:27], 0 offset:2616 ; 4-byte Folded Spill
	buffer_store_dword v33, off, s[24:27], 0 offset:2620 ; 4-byte Folded Spill
	;; [unrolled: 1-line block ×3, first 2 shown]
	v_mul_f64 v[8:9], v[189:190], v[6:7]
	v_mul_f64 v[8:9], v[185:186], v[8:9]
	v_fma_f64 v[2:3], v[8:9], v[33:34], v[2:3]
	ds_read2_b64 v[31:34], v255 offset0:17 offset1:18
	s_waitcnt lgkmcnt(0)
	buffer_store_dword v31, off, s[24:27], 0 offset:2628 ; 4-byte Folded Spill
	s_nop 0
	buffer_store_dword v32, off, s[24:27], 0 offset:2632 ; 4-byte Folded Spill
	buffer_store_dword v33, off, s[24:27], 0 offset:2636 ; 4-byte Folded Spill
	;; [unrolled: 1-line block ×3, first 2 shown]
	v_mul_f64 v[8:9], v[181:182], v[6:7]
	v_mul_f64 v[6:7], v[173:174], v[6:7]
	;; [unrolled: 1-line block ×4, first 2 shown]
	v_fma_f64 v[2:3], v[8:9], v[33:34], v[2:3]
	ds_read_b128 v[31:34], v255 offset:144
	s_waitcnt lgkmcnt(0)
	buffer_store_dword v31, off, s[24:27], 0 offset:2644 ; 4-byte Folded Spill
	s_nop 0
	buffer_store_dword v32, off, s[24:27], 0 offset:2648 ; 4-byte Folded Spill
	buffer_store_dword v33, off, s[24:27], 0 offset:2652 ; 4-byte Folded Spill
	;; [unrolled: 1-line block ×3, first 2 shown]
	v_fma_f64 v[2:3], v[6:7], v[33:34], v[2:3]
	ds_read2_b64 v[31:34], v255 offset0:19 offset1:20
	s_waitcnt lgkmcnt(0)
	buffer_store_dword v31, off, s[24:27], 0 offset:2676 ; 4-byte Folded Spill
	s_nop 0
	buffer_store_dword v32, off, s[24:27], 0 offset:2680 ; 4-byte Folded Spill
	buffer_store_dword v33, off, s[24:27], 0 offset:2684 ; 4-byte Folded Spill
	;; [unrolled: 1-line block ×3, first 2 shown]
	v_mul_f64 v[6:7], v[11:12], v[0:1]
	v_mul_f64 v[6:7], v[169:170], v[6:7]
	v_fma_f64 v[2:3], v[6:7], v[33:34], v[2:3]
	ds_read_b128 v[31:34], v255 offset:160
	s_waitcnt lgkmcnt(0)
	buffer_store_dword v31, off, s[24:27], 0 offset:2660 ; 4-byte Folded Spill
	s_nop 0
	buffer_store_dword v32, off, s[24:27], 0 offset:2664 ; 4-byte Folded Spill
	buffer_store_dword v33, off, s[24:27], 0 offset:2668 ; 4-byte Folded Spill
	buffer_store_dword v34, off, s[24:27], 0 offset:2672 ; 4-byte Folded Spill
	v_mul_f64 v[6:7], v[197:198], v[0:1]
	v_mul_f64 v[6:7], v[193:194], v[6:7]
	v_fma_f64 v[2:3], v[6:7], v[33:34], v[2:3]
	ds_read2_b64 v[31:34], v255 offset0:21 offset1:22
	s_waitcnt lgkmcnt(0)
	buffer_store_dword v31, off, s[24:27], 0 offset:2692 ; 4-byte Folded Spill
	s_nop 0
	buffer_store_dword v32, off, s[24:27], 0 offset:2696 ; 4-byte Folded Spill
	buffer_store_dword v33, off, s[24:27], 0 offset:2700 ; 4-byte Folded Spill
	;; [unrolled: 1-line block ×3, first 2 shown]
	v_mul_f64 v[6:7], v[189:190], v[0:1]
	v_mul_f64 v[6:7], v[185:186], v[6:7]
	v_fma_f64 v[2:3], v[6:7], v[33:34], v[2:3]
	ds_read_b128 v[31:34], v255 offset:176
	s_waitcnt lgkmcnt(0)
	buffer_store_dword v31, off, s[24:27], 0 offset:2708 ; 4-byte Folded Spill
	s_nop 0
	buffer_store_dword v32, off, s[24:27], 0 offset:2712 ; 4-byte Folded Spill
	buffer_store_dword v33, off, s[24:27], 0 offset:2716 ; 4-byte Folded Spill
	;; [unrolled: 1-line block ×3, first 2 shown]
	v_mul_f64 v[6:7], v[181:182], v[0:1]
	v_mul_f64 v[0:1], v[173:174], v[0:1]
	;; [unrolled: 1-line block ×4, first 2 shown]
	v_fma_f64 v[2:3], v[6:7], v[33:34], v[2:3]
	ds_read2_b64 v[6:9], v255 offset0:23 offset1:24
	s_waitcnt lgkmcnt(0)
	buffer_store_dword v6, off, s[24:27], 0 offset:2724 ; 4-byte Folded Spill
	s_nop 0
	buffer_store_dword v7, off, s[24:27], 0 offset:2728 ; 4-byte Folded Spill
	buffer_store_dword v8, off, s[24:27], 0 offset:2732 ; 4-byte Folded Spill
	;; [unrolled: 1-line block ×3, first 2 shown]
	ds_read_b128 v[31:34], v255 offset:192
	s_waitcnt lgkmcnt(0)
	buffer_store_dword v31, off, s[24:27], 0 offset:2756 ; 4-byte Folded Spill
	s_nop 0
	buffer_store_dword v32, off, s[24:27], 0 offset:2760 ; 4-byte Folded Spill
	buffer_store_dword v33, off, s[24:27], 0 offset:2764 ; 4-byte Folded Spill
	;; [unrolled: 1-line block ×3, first 2 shown]
	v_fma_f64 v[0:1], v[0:1], v[8:9], v[2:3]
	v_mul_f64 v[2:3], v[49:50], v[4:5]
	v_mul_f64 v[4:5], v[13:14], v[2:3]
	;; [unrolled: 1-line block ×5, first 2 shown]
	v_fma_f64 v[0:1], v[33:34], v[6:7], v[0:1]
	ds_read2_b64 v[31:34], v255 offset0:25 offset1:26
	s_waitcnt lgkmcnt(0)
	buffer_store_dword v31, off, s[24:27], 0 offset:2020 ; 4-byte Folded Spill
	s_nop 0
	buffer_store_dword v32, off, s[24:27], 0 offset:2024 ; 4-byte Folded Spill
	buffer_store_dword v33, off, s[24:27], 0 offset:2028 ; 4-byte Folded Spill
	;; [unrolled: 1-line block ×3, first 2 shown]
	v_mul_f64 v[6:7], v[197:198], v[4:5]
	v_mul_f64 v[6:7], v[193:194], v[6:7]
	v_fma_f64 v[0:1], v[33:34], v[6:7], v[0:1]
	ds_read_b128 v[31:34], v255 offset:208
	s_waitcnt lgkmcnt(0)
	buffer_store_dword v31, off, s[24:27], 0 offset:2036 ; 4-byte Folded Spill
	s_nop 0
	buffer_store_dword v32, off, s[24:27], 0 offset:2040 ; 4-byte Folded Spill
	buffer_store_dword v33, off, s[24:27], 0 offset:2044 ; 4-byte Folded Spill
	;; [unrolled: 1-line block ×3, first 2 shown]
	v_mul_f64 v[6:7], v[189:190], v[4:5]
	v_mul_f64 v[6:7], v[185:186], v[6:7]
	v_fma_f64 v[0:1], v[33:34], v[6:7], v[0:1]
	ds_read2_b64 v[31:34], v255 offset0:27 offset1:28
	s_waitcnt lgkmcnt(0)
	buffer_store_dword v31, off, s[24:27], 0 offset:2052 ; 4-byte Folded Spill
	s_nop 0
	buffer_store_dword v32, off, s[24:27], 0 offset:2056 ; 4-byte Folded Spill
	buffer_store_dword v33, off, s[24:27], 0 offset:2060 ; 4-byte Folded Spill
	;; [unrolled: 1-line block ×3, first 2 shown]
	v_mul_f64 v[6:7], v[181:182], v[4:5]
	v_mul_f64 v[4:5], v[173:174], v[4:5]
	;; [unrolled: 1-line block ×4, first 2 shown]
	v_fma_f64 v[0:1], v[33:34], v[6:7], v[0:1]
	ds_read_b128 v[6:9], v255 offset:224
	s_waitcnt lgkmcnt(0)
	buffer_store_dword v6, off, s[24:27], 0 offset:2068 ; 4-byte Folded Spill
	s_nop 0
	buffer_store_dword v7, off, s[24:27], 0 offset:2072 ; 4-byte Folded Spill
	buffer_store_dword v8, off, s[24:27], 0 offset:2076 ; 4-byte Folded Spill
	;; [unrolled: 1-line block ×3, first 2 shown]
	v_mov_b32_e32 v34, v30
	v_mov_b32_e32 v33, v29
	;; [unrolled: 1-line block ×4, first 2 shown]
	v_fma_f64 v[0:1], v[4:5], v[8:9], v[0:1]
	v_mul_f64 v[4:5], v[29:30], v[2:3]
	ds_read2_b64 v[27:30], v255 offset0:29 offset1:30
	s_waitcnt lgkmcnt(0)
	buffer_store_dword v27, off, s[24:27], 0 offset:2100 ; 4-byte Folded Spill
	s_nop 0
	buffer_store_dword v28, off, s[24:27], 0 offset:2104 ; 4-byte Folded Spill
	buffer_store_dword v29, off, s[24:27], 0 offset:2108 ; 4-byte Folded Spill
	;; [unrolled: 1-line block ×3, first 2 shown]
	v_mul_f64 v[4:5], v[91:92], v[4:5]
	v_mul_f64 v[6:7], v[11:12], v[4:5]
	;; [unrolled: 1-line block ×3, first 2 shown]
	v_fma_f64 v[0:1], v[6:7], v[29:30], v[0:1]
	ds_read_b128 v[27:30], v255 offset:240
	s_waitcnt lgkmcnt(0)
	buffer_store_dword v27, off, s[24:27], 0 offset:2084 ; 4-byte Folded Spill
	s_nop 0
	buffer_store_dword v28, off, s[24:27], 0 offset:2088 ; 4-byte Folded Spill
	buffer_store_dword v29, off, s[24:27], 0 offset:2092 ; 4-byte Folded Spill
	;; [unrolled: 1-line block ×3, first 2 shown]
	v_mul_f64 v[6:7], v[197:198], v[4:5]
	v_mul_f64 v[6:7], v[193:194], v[6:7]
	v_fma_f64 v[0:1], v[6:7], v[29:30], v[0:1]
	ds_read2_b64 v[27:30], v255 offset0:31 offset1:32
	s_waitcnt lgkmcnt(0)
	buffer_store_dword v27, off, s[24:27], 0 offset:2116 ; 4-byte Folded Spill
	s_nop 0
	buffer_store_dword v28, off, s[24:27], 0 offset:2120 ; 4-byte Folded Spill
	buffer_store_dword v29, off, s[24:27], 0 offset:2124 ; 4-byte Folded Spill
	;; [unrolled: 1-line block ×3, first 2 shown]
	v_mul_f64 v[6:7], v[189:190], v[4:5]
	v_mul_f64 v[6:7], v[185:186], v[6:7]
	v_fma_f64 v[0:1], v[6:7], v[29:30], v[0:1]
	ds_read2_b64 v[27:30], v255 offset0:32 offset1:33
	s_waitcnt lgkmcnt(0)
	buffer_store_dword v27, off, s[24:27], 0 offset:2892 ; 4-byte Folded Spill
	s_nop 0
	buffer_store_dword v28, off, s[24:27], 0 offset:2896 ; 4-byte Folded Spill
	buffer_store_dword v29, off, s[24:27], 0 offset:2900 ; 4-byte Folded Spill
	;; [unrolled: 1-line block ×3, first 2 shown]
	v_mul_f64 v[6:7], v[181:182], v[4:5]
	v_mul_f64 v[4:5], v[173:174], v[4:5]
	ds_read2_b64 v[155:158], v255 offset0:33 offset1:34
	v_mul_f64 v[6:7], v[177:178], v[6:7]
	v_mul_f64 v[4:5], v[119:120], v[4:5]
	v_fma_f64 v[0:1], v[6:7], v[29:30], v[0:1]
	v_mov_b32_e32 v30, v26
	v_mov_b32_e32 v29, v25
	;; [unrolled: 1-line block ×4, first 2 shown]
	s_waitcnt lgkmcnt(0)
	v_fma_f64 v[0:1], v[4:5], v[157:158], v[0:1]
	v_mul_f64 v[4:5], v[25:26], v[2:3]
	ds_read2_b64 v[23:26], v255 offset0:34 offset1:35
	s_waitcnt lgkmcnt(0)
	buffer_store_dword v23, off, s[24:27], s10 ; 4-byte Folded Spill
	s_nop 0
	buffer_store_dword v24, off, s[24:27], s10 offset:4 ; 4-byte Folded Spill
	buffer_store_dword v25, off, s[24:27], s10 offset:8 ; 4-byte Folded Spill
	;; [unrolled: 1-line block ×3, first 2 shown]
	s_mov_b32 s10, 0x43000
	v_mul_f64 v[4:5], v[87:88], v[4:5]
	v_mul_f64 v[6:7], v[11:12], v[4:5]
	;; [unrolled: 1-line block ×3, first 2 shown]
	v_fma_f64 v[0:1], v[6:7], v[25:26], v[0:1]
	ds_read2_b64 v[23:26], v255 offset0:35 offset1:36
	s_waitcnt lgkmcnt(0)
	buffer_store_dword v23, off, s[24:27], 0 offset:2860 ; 4-byte Folded Spill
	s_nop 0
	buffer_store_dword v24, off, s[24:27], 0 offset:2864 ; 4-byte Folded Spill
	buffer_store_dword v25, off, s[24:27], 0 offset:2868 ; 4-byte Folded Spill
	buffer_store_dword v26, off, s[24:27], 0 offset:2872 ; 4-byte Folded Spill
	v_mul_f64 v[6:7], v[197:198], v[4:5]
	v_mul_f64 v[6:7], v[193:194], v[6:7]
	v_fma_f64 v[0:1], v[6:7], v[25:26], v[0:1]
	ds_read2_b64 v[23:26], v255 offset0:36 offset1:37
	s_waitcnt lgkmcnt(0)
	buffer_store_dword v23, off, s[24:27], s10 ; 4-byte Folded Spill
	s_nop 0
	buffer_store_dword v24, off, s[24:27], s10 offset:4 ; 4-byte Folded Spill
	buffer_store_dword v25, off, s[24:27], s10 offset:8 ; 4-byte Folded Spill
	;; [unrolled: 1-line block ×3, first 2 shown]
	v_mul_f64 v[6:7], v[189:190], v[4:5]
	s_mov_b32 s10, 0x43400
	v_mul_f64 v[6:7], v[185:186], v[6:7]
	v_fma_f64 v[0:1], v[6:7], v[25:26], v[0:1]
	ds_read2_b64 v[23:26], v255 offset0:37 offset1:38
	s_waitcnt lgkmcnt(0)
	buffer_store_dword v23, off, s[24:27], s10 ; 4-byte Folded Spill
	s_nop 0
	buffer_store_dword v24, off, s[24:27], s10 offset:4 ; 4-byte Folded Spill
	buffer_store_dword v25, off, s[24:27], s10 offset:8 ; 4-byte Folded Spill
	;; [unrolled: 1-line block ×3, first 2 shown]
	v_mul_f64 v[6:7], v[181:182], v[4:5]
	v_mul_f64 v[4:5], v[173:174], v[4:5]
	s_mov_b32 s10, 0x42700
	v_mul_f64 v[6:7], v[177:178], v[6:7]
	v_mul_f64 v[4:5], v[119:120], v[4:5]
	v_fma_f64 v[0:1], v[6:7], v[25:26], v[0:1]
	ds_read2_b64 v[6:9], v255 offset0:38 offset1:39
	s_waitcnt lgkmcnt(0)
	buffer_store_dword v6, off, s[24:27], 0 offset:2924 ; 4-byte Folded Spill
	s_nop 0
	buffer_store_dword v7, off, s[24:27], 0 offset:2928 ; 4-byte Folded Spill
	buffer_store_dword v8, off, s[24:27], 0 offset:2932 ; 4-byte Folded Spill
	buffer_store_dword v9, off, s[24:27], 0 offset:2936 ; 4-byte Folded Spill
	v_mov_b32_e32 v26, v22
	v_mov_b32_e32 v25, v21
	;; [unrolled: 1-line block ×4, first 2 shown]
	v_fma_f64 v[0:1], v[4:5], v[8:9], v[0:1]
	v_mul_f64 v[4:5], v[21:22], v[2:3]
	ds_read2_b64 v[19:22], v255 offset0:39 offset1:40
	s_waitcnt lgkmcnt(0)
	buffer_store_dword v19, off, s[24:27], 0 offset:2988 ; 4-byte Folded Spill
	s_nop 0
	buffer_store_dword v20, off, s[24:27], 0 offset:2992 ; 4-byte Folded Spill
	buffer_store_dword v21, off, s[24:27], 0 offset:2996 ; 4-byte Folded Spill
	buffer_store_dword v22, off, s[24:27], 0 offset:3000 ; 4-byte Folded Spill
	v_mul_f64 v[2:3], v[17:18], v[2:3]
	v_mul_f64 v[4:5], v[83:84], v[4:5]
	;; [unrolled: 1-line block ×5, first 2 shown]
	v_fma_f64 v[0:1], v[6:7], v[21:22], v[0:1]
	ds_read2_b64 v[19:22], v255 offset0:40 offset1:41
	s_waitcnt lgkmcnt(0)
	buffer_store_dword v19, off, s[24:27], s10 ; 4-byte Folded Spill
	s_nop 0
	buffer_store_dword v20, off, s[24:27], s10 offset:4 ; 4-byte Folded Spill
	buffer_store_dword v21, off, s[24:27], s10 offset:8 ; 4-byte Folded Spill
	buffer_store_dword v22, off, s[24:27], s10 offset:12 ; 4-byte Folded Spill
	v_mul_f64 v[6:7], v[197:198], v[4:5]
	s_mov_b32 s10, 0x42300
	v_mul_f64 v[6:7], v[193:194], v[6:7]
	v_fma_f64 v[0:1], v[6:7], v[21:22], v[0:1]
	ds_read2_b64 v[19:22], v255 offset0:41 offset1:42
	s_waitcnt lgkmcnt(0)
	buffer_store_dword v19, off, s[24:27], 0 offset:2940 ; 4-byte Folded Spill
	s_nop 0
	buffer_store_dword v20, off, s[24:27], 0 offset:2944 ; 4-byte Folded Spill
	buffer_store_dword v21, off, s[24:27], 0 offset:2948 ; 4-byte Folded Spill
	;; [unrolled: 1-line block ×3, first 2 shown]
	v_mul_f64 v[6:7], v[189:190], v[4:5]
	v_mul_f64 v[6:7], v[185:186], v[6:7]
	v_fma_f64 v[0:1], v[6:7], v[21:22], v[0:1]
	ds_read2_b64 v[19:22], v255 offset0:42 offset1:43
	s_waitcnt lgkmcnt(0)
	buffer_store_dword v19, off, s[24:27], 0 offset:2956 ; 4-byte Folded Spill
	s_nop 0
	buffer_store_dword v20, off, s[24:27], 0 offset:2960 ; 4-byte Folded Spill
	buffer_store_dword v21, off, s[24:27], 0 offset:2964 ; 4-byte Folded Spill
	;; [unrolled: 1-line block ×3, first 2 shown]
	v_mul_f64 v[6:7], v[181:182], v[4:5]
	v_mul_f64 v[4:5], v[173:174], v[4:5]
	;; [unrolled: 1-line block ×4, first 2 shown]
	v_fma_f64 v[0:1], v[6:7], v[21:22], v[0:1]
	ds_read2_b64 v[6:9], v255 offset0:43 offset1:44
	s_waitcnt lgkmcnt(0)
	buffer_store_dword v6, off, s[24:27], 0 offset:2972 ; 4-byte Folded Spill
	s_nop 0
	buffer_store_dword v7, off, s[24:27], 0 offset:2976 ; 4-byte Folded Spill
	buffer_store_dword v8, off, s[24:27], 0 offset:2980 ; 4-byte Folded Spill
	;; [unrolled: 1-line block ×3, first 2 shown]
	v_fma_f64 v[0:1], v[4:5], v[8:9], v[0:1]
	ds_read2_b64 v[6:9], v255 offset0:44 offset1:45
	s_waitcnt lgkmcnt(0)
	buffer_store_dword v6, off, s[24:27], s10 ; 4-byte Folded Spill
	s_nop 0
	buffer_store_dword v7, off, s[24:27], s10 offset:4 ; 4-byte Folded Spill
	buffer_store_dword v8, off, s[24:27], s10 offset:8 ; 4-byte Folded Spill
	;; [unrolled: 1-line block ×3, first 2 shown]
	v_mul_f64 v[4:5], v[11:12], v[2:3]
	s_mov_b32 s10, 0x41f00
	v_mul_f64 v[4:5], v[169:170], v[4:5]
	v_fma_f64 v[0:1], v[4:5], v[8:9], v[0:1]
	ds_read2_b64 v[6:9], v255 offset0:45 offset1:46
	s_waitcnt lgkmcnt(0)
	buffer_store_dword v6, off, s[24:27], s10 ; 4-byte Folded Spill
	s_nop 0
	buffer_store_dword v7, off, s[24:27], s10 offset:4 ; 4-byte Folded Spill
	buffer_store_dword v8, off, s[24:27], s10 offset:8 ; 4-byte Folded Spill
	;; [unrolled: 1-line block ×3, first 2 shown]
	v_mul_f64 v[4:5], v[197:198], v[2:3]
	s_mov_b32 s10, 0x41b00
	v_mul_f64 v[4:5], v[193:194], v[4:5]
	v_fma_f64 v[0:1], v[4:5], v[8:9], v[0:1]
	ds_read2_b64 v[6:9], v255 offset0:46 offset1:47
	s_waitcnt lgkmcnt(0)
	buffer_store_dword v6, off, s[24:27], 0 offset:3004 ; 4-byte Folded Spill
	s_nop 0
	buffer_store_dword v7, off, s[24:27], 0 offset:3008 ; 4-byte Folded Spill
	buffer_store_dword v8, off, s[24:27], 0 offset:3012 ; 4-byte Folded Spill
	;; [unrolled: 1-line block ×3, first 2 shown]
	v_mul_f64 v[4:5], v[189:190], v[2:3]
	v_mul_f64 v[4:5], v[185:186], v[4:5]
	v_fma_f64 v[0:1], v[4:5], v[8:9], v[0:1]
	ds_read2_b64 v[6:9], v255 offset0:47 offset1:48
	s_waitcnt lgkmcnt(0)
	buffer_store_dword v6, off, s[24:27], 0 offset:3020 ; 4-byte Folded Spill
	s_nop 0
	buffer_store_dword v7, off, s[24:27], 0 offset:3024 ; 4-byte Folded Spill
	buffer_store_dword v8, off, s[24:27], 0 offset:3028 ; 4-byte Folded Spill
	;; [unrolled: 1-line block ×3, first 2 shown]
	v_mul_f64 v[4:5], v[181:182], v[2:3]
	v_mul_f64 v[2:3], v[173:174], v[2:3]
	;; [unrolled: 1-line block ×4, first 2 shown]
	v_fma_f64 v[0:1], v[4:5], v[8:9], v[0:1]
	ds_read2_b64 v[4:7], v255 offset0:48 offset1:49
	s_waitcnt lgkmcnt(0)
	buffer_store_dword v4, off, s[24:27], 0 offset:3036 ; 4-byte Folded Spill
	s_nop 0
	buffer_store_dword v5, off, s[24:27], 0 offset:3040 ; 4-byte Folded Spill
	buffer_store_dword v6, off, s[24:27], 0 offset:3044 ; 4-byte Folded Spill
	;; [unrolled: 1-line block ×3, first 2 shown]
	v_fma_f64 v[0:1], v[2:3], v[6:7], v[0:1]
	ds_read_b64 v[2:3], v36 offset:64
	ds_read_b64 v[4:5], v136 offset:64
	ds_read2_b64 v[19:22], v255 offset0:49 offset1:50
	s_waitcnt lgkmcnt(0)
	buffer_store_dword v19, off, s[24:27], 0 offset:3116 ; 4-byte Folded Spill
	s_nop 0
	buffer_store_dword v20, off, s[24:27], 0 offset:3120 ; 4-byte Folded Spill
	buffer_store_dword v21, off, s[24:27], 0 offset:3124 ; 4-byte Folded Spill
	;; [unrolled: 1-line block ×3, first 2 shown]
	v_mul_f64 v[2:3], v[2:3], v[4:5]
	v_mul_f64 v[4:5], v[13:14], v[2:3]
	;; [unrolled: 1-line block ×5, first 2 shown]
	v_fma_f64 v[0:1], v[21:22], v[6:7], v[0:1]
	ds_read2_b64 v[19:22], v255 offset0:50 offset1:51
	s_waitcnt lgkmcnt(0)
	buffer_store_dword v19, off, s[24:27], 0 offset:3052 ; 4-byte Folded Spill
	s_nop 0
	buffer_store_dword v20, off, s[24:27], 0 offset:3056 ; 4-byte Folded Spill
	buffer_store_dword v21, off, s[24:27], 0 offset:3060 ; 4-byte Folded Spill
	buffer_store_dword v22, off, s[24:27], 0 offset:3064 ; 4-byte Folded Spill
	v_mul_f64 v[6:7], v[197:198], v[4:5]
	v_mul_f64 v[6:7], v[193:194], v[6:7]
	v_fma_f64 v[0:1], v[21:22], v[6:7], v[0:1]
	ds_read2_b64 v[19:22], v255 offset0:51 offset1:52
	s_waitcnt lgkmcnt(0)
	buffer_store_dword v19, off, s[24:27], 0 offset:3068 ; 4-byte Folded Spill
	s_nop 0
	buffer_store_dword v20, off, s[24:27], 0 offset:3072 ; 4-byte Folded Spill
	buffer_store_dword v21, off, s[24:27], 0 offset:3076 ; 4-byte Folded Spill
	buffer_store_dword v22, off, s[24:27], 0 offset:3080 ; 4-byte Folded Spill
	v_mul_f64 v[6:7], v[189:190], v[4:5]
	v_mul_f64 v[6:7], v[185:186], v[6:7]
	v_fma_f64 v[0:1], v[21:22], v[6:7], v[0:1]
	ds_read2_b64 v[19:22], v255 offset0:52 offset1:53
	s_waitcnt lgkmcnt(0)
	buffer_store_dword v19, off, s[24:27], 0 offset:3084 ; 4-byte Folded Spill
	s_nop 0
	buffer_store_dword v20, off, s[24:27], 0 offset:3088 ; 4-byte Folded Spill
	buffer_store_dword v21, off, s[24:27], 0 offset:3092 ; 4-byte Folded Spill
	buffer_store_dword v22, off, s[24:27], 0 offset:3096 ; 4-byte Folded Spill
	v_mul_f64 v[6:7], v[181:182], v[4:5]
	v_mul_f64 v[4:5], v[173:174], v[4:5]
	v_mul_f64 v[6:7], v[177:178], v[6:7]
	v_mul_f64 v[4:5], v[119:120], v[4:5]
	v_fma_f64 v[0:1], v[21:22], v[6:7], v[0:1]
	ds_read2_b64 v[6:9], v255 offset0:53 offset1:54
	s_waitcnt lgkmcnt(0)
	buffer_store_dword v6, off, s[24:27], 0 offset:3100 ; 4-byte Folded Spill
	s_nop 0
	buffer_store_dword v7, off, s[24:27], 0 offset:3104 ; 4-byte Folded Spill
	buffer_store_dword v8, off, s[24:27], 0 offset:3108 ; 4-byte Folded Spill
	;; [unrolled: 1-line block ×3, first 2 shown]
	ds_read2_b64 v[19:22], v255 offset0:54 offset1:55
	s_waitcnt lgkmcnt(0)
	buffer_store_dword v19, off, s[24:27], s10 ; 4-byte Folded Spill
	s_nop 0
	buffer_store_dword v20, off, s[24:27], s10 offset:4 ; 4-byte Folded Spill
	buffer_store_dword v21, off, s[24:27], s10 offset:8 ; 4-byte Folded Spill
	;; [unrolled: 1-line block ×3, first 2 shown]
	s_mov_b32 s10, 0x41300
	v_fma_f64 v[0:1], v[4:5], v[8:9], v[0:1]
	v_mul_f64 v[4:5], v[33:34], v[2:3]
	v_mul_f64 v[4:5], v[91:92], v[4:5]
	;; [unrolled: 1-line block ×4, first 2 shown]
	v_fma_f64 v[0:1], v[6:7], v[21:22], v[0:1]
	ds_read2_b64 v[19:22], v255 offset0:55 offset1:56
	s_waitcnt lgkmcnt(0)
	buffer_store_dword v19, off, s[24:27], 0 offset:3132 ; 4-byte Folded Spill
	s_nop 0
	buffer_store_dword v20, off, s[24:27], 0 offset:3136 ; 4-byte Folded Spill
	buffer_store_dword v21, off, s[24:27], 0 offset:3140 ; 4-byte Folded Spill
	buffer_store_dword v22, off, s[24:27], 0 offset:3144 ; 4-byte Folded Spill
	v_mul_f64 v[6:7], v[197:198], v[4:5]
	v_mul_f64 v[6:7], v[193:194], v[6:7]
	v_fma_f64 v[0:1], v[6:7], v[21:22], v[0:1]
	ds_read2_b64 v[19:22], v255 offset0:56 offset1:57
	s_waitcnt lgkmcnt(0)
	buffer_store_dword v19, off, s[24:27], 0 offset:3148 ; 4-byte Folded Spill
	s_nop 0
	buffer_store_dword v20, off, s[24:27], 0 offset:3152 ; 4-byte Folded Spill
	buffer_store_dword v21, off, s[24:27], 0 offset:3156 ; 4-byte Folded Spill
	buffer_store_dword v22, off, s[24:27], 0 offset:3160 ; 4-byte Folded Spill
	v_mul_f64 v[6:7], v[189:190], v[4:5]
	v_mul_f64 v[6:7], v[185:186], v[6:7]
	;; [unrolled: 10-line block ×3, first 2 shown]
	v_mul_f64 v[6:7], v[177:178], v[6:7]
	v_mul_f64 v[4:5], v[119:120], v[4:5]
	v_fma_f64 v[0:1], v[6:7], v[21:22], v[0:1]
	ds_read2_b64 v[6:9], v255 offset0:58 offset1:59
	s_waitcnt lgkmcnt(0)
	buffer_store_dword v6, off, s[24:27], 0 offset:3180 ; 4-byte Folded Spill
	s_nop 0
	buffer_store_dword v7, off, s[24:27], 0 offset:3184 ; 4-byte Folded Spill
	buffer_store_dword v8, off, s[24:27], 0 offset:3188 ; 4-byte Folded Spill
	;; [unrolled: 1-line block ×3, first 2 shown]
	ds_read2_b64 v[19:22], v255 offset0:59 offset1:60
	s_waitcnt lgkmcnt(0)
	buffer_store_dword v19, off, s[24:27], 0 offset:3212 ; 4-byte Folded Spill
	s_nop 0
	buffer_store_dword v20, off, s[24:27], 0 offset:3216 ; 4-byte Folded Spill
	buffer_store_dword v21, off, s[24:27], 0 offset:3220 ; 4-byte Folded Spill
	;; [unrolled: 1-line block ×3, first 2 shown]
	v_fma_f64 v[0:1], v[4:5], v[8:9], v[0:1]
	v_mul_f64 v[4:5], v[29:30], v[2:3]
	v_mul_f64 v[4:5], v[87:88], v[4:5]
	;; [unrolled: 1-line block ×4, first 2 shown]
	v_fma_f64 v[0:1], v[6:7], v[21:22], v[0:1]
	ds_read2_b64 v[19:22], v255 offset0:60 offset1:61
	s_waitcnt lgkmcnt(0)
	buffer_store_dword v19, off, s[24:27], 0 offset:3196 ; 4-byte Folded Spill
	s_nop 0
	buffer_store_dword v20, off, s[24:27], 0 offset:3200 ; 4-byte Folded Spill
	buffer_store_dword v21, off, s[24:27], 0 offset:3204 ; 4-byte Folded Spill
	;; [unrolled: 1-line block ×3, first 2 shown]
	v_mul_f64 v[6:7], v[197:198], v[4:5]
	v_mul_f64 v[6:7], v[193:194], v[6:7]
	v_fma_f64 v[0:1], v[6:7], v[21:22], v[0:1]
	ds_read2_b64 v[19:22], v255 offset0:61 offset1:62
	s_waitcnt lgkmcnt(0)
	buffer_store_dword v19, off, s[24:27], s10 ; 4-byte Folded Spill
	s_nop 0
	buffer_store_dword v20, off, s[24:27], s10 offset:4 ; 4-byte Folded Spill
	buffer_store_dword v21, off, s[24:27], s10 offset:8 ; 4-byte Folded Spill
	buffer_store_dword v22, off, s[24:27], s10 offset:12 ; 4-byte Folded Spill
	v_mul_f64 v[6:7], v[189:190], v[4:5]
	s_mov_b32 s10, 0x40f00
	v_mul_f64 v[6:7], v[185:186], v[6:7]
	v_fma_f64 v[0:1], v[6:7], v[21:22], v[0:1]
	ds_read2_b64 v[19:22], v255 offset0:62 offset1:63
	s_waitcnt lgkmcnt(0)
	buffer_store_dword v19, off, s[24:27], 0 offset:3228 ; 4-byte Folded Spill
	s_nop 0
	buffer_store_dword v20, off, s[24:27], 0 offset:3232 ; 4-byte Folded Spill
	buffer_store_dword v21, off, s[24:27], 0 offset:3236 ; 4-byte Folded Spill
	;; [unrolled: 1-line block ×3, first 2 shown]
	v_mul_f64 v[6:7], v[181:182], v[4:5]
	v_mul_f64 v[4:5], v[173:174], v[4:5]
	;; [unrolled: 1-line block ×4, first 2 shown]
	v_fma_f64 v[0:1], v[6:7], v[21:22], v[0:1]
	ds_read2_b64 v[6:9], v255 offset0:63 offset1:64
	s_waitcnt lgkmcnt(0)
	buffer_store_dword v6, off, s[24:27], 0 offset:3244 ; 4-byte Folded Spill
	s_nop 0
	buffer_store_dword v7, off, s[24:27], 0 offset:3248 ; 4-byte Folded Spill
	buffer_store_dword v8, off, s[24:27], 0 offset:3252 ; 4-byte Folded Spill
	buffer_store_dword v9, off, s[24:27], 0 offset:3256 ; 4-byte Folded Spill
	ds_read2_b64 v[19:22], v255 offset0:64 offset1:65
	s_waitcnt lgkmcnt(0)
	buffer_store_dword v19, off, s[24:27], 0 offset:3276 ; 4-byte Folded Spill
	s_nop 0
	buffer_store_dword v20, off, s[24:27], 0 offset:3280 ; 4-byte Folded Spill
	buffer_store_dword v21, off, s[24:27], 0 offset:3284 ; 4-byte Folded Spill
	;; [unrolled: 1-line block ×3, first 2 shown]
	v_fma_f64 v[0:1], v[4:5], v[8:9], v[0:1]
	v_mul_f64 v[4:5], v[25:26], v[2:3]
	v_mul_f64 v[2:3], v[17:18], v[2:3]
	;; [unrolled: 1-line block ×6, first 2 shown]
	v_fma_f64 v[0:1], v[6:7], v[21:22], v[0:1]
	ds_read2_b64 v[19:22], v255 offset0:65 offset1:66
	s_waitcnt lgkmcnt(0)
	buffer_store_dword v19, off, s[24:27], 0 offset:3260 ; 4-byte Folded Spill
	s_nop 0
	buffer_store_dword v20, off, s[24:27], 0 offset:3264 ; 4-byte Folded Spill
	buffer_store_dword v21, off, s[24:27], 0 offset:3268 ; 4-byte Folded Spill
	buffer_store_dword v22, off, s[24:27], 0 offset:3272 ; 4-byte Folded Spill
	v_mul_f64 v[6:7], v[197:198], v[4:5]
	v_mul_f64 v[6:7], v[193:194], v[6:7]
	v_fma_f64 v[0:1], v[6:7], v[21:22], v[0:1]
	ds_read2_b64 v[19:22], v255 offset0:66 offset1:67
	s_waitcnt lgkmcnt(0)
	buffer_store_dword v19, off, s[24:27], 0 offset:3292 ; 4-byte Folded Spill
	s_nop 0
	buffer_store_dword v20, off, s[24:27], 0 offset:3296 ; 4-byte Folded Spill
	buffer_store_dword v21, off, s[24:27], 0 offset:3300 ; 4-byte Folded Spill
	buffer_store_dword v22, off, s[24:27], 0 offset:3304 ; 4-byte Folded Spill
	v_mul_f64 v[6:7], v[189:190], v[4:5]
	v_mul_f64 v[6:7], v[185:186], v[6:7]
	;; [unrolled: 10-line block ×3, first 2 shown]
	v_mul_f64 v[6:7], v[177:178], v[6:7]
	v_mul_f64 v[4:5], v[119:120], v[4:5]
	v_fma_f64 v[0:1], v[6:7], v[21:22], v[0:1]
	ds_read2_b64 v[6:9], v255 offset0:68 offset1:69
	s_waitcnt lgkmcnt(0)
	buffer_store_dword v6, off, s[24:27], 0 offset:3324 ; 4-byte Folded Spill
	s_nop 0
	buffer_store_dword v7, off, s[24:27], 0 offset:3328 ; 4-byte Folded Spill
	buffer_store_dword v8, off, s[24:27], 0 offset:3332 ; 4-byte Folded Spill
	;; [unrolled: 1-line block ×3, first 2 shown]
	v_fma_f64 v[0:1], v[4:5], v[8:9], v[0:1]
	ds_read2_b64 v[6:9], v255 offset0:69 offset1:70
	s_waitcnt lgkmcnt(0)
	buffer_store_dword v6, off, s[24:27], 0 offset:3356 ; 4-byte Folded Spill
	s_nop 0
	buffer_store_dword v7, off, s[24:27], 0 offset:3360 ; 4-byte Folded Spill
	buffer_store_dword v8, off, s[24:27], 0 offset:3364 ; 4-byte Folded Spill
	buffer_store_dword v9, off, s[24:27], 0 offset:3368 ; 4-byte Folded Spill
	v_mul_f64 v[4:5], v[11:12], v[2:3]
	v_mul_f64 v[4:5], v[169:170], v[4:5]
	v_fma_f64 v[0:1], v[4:5], v[8:9], v[0:1]
	ds_read2_b64 v[6:9], v255 offset0:70 offset1:71
	s_waitcnt lgkmcnt(0)
	buffer_store_dword v6, off, s[24:27], 0 offset:3340 ; 4-byte Folded Spill
	s_nop 0
	buffer_store_dword v7, off, s[24:27], 0 offset:3344 ; 4-byte Folded Spill
	buffer_store_dword v8, off, s[24:27], 0 offset:3348 ; 4-byte Folded Spill
	buffer_store_dword v9, off, s[24:27], 0 offset:3352 ; 4-byte Folded Spill
	v_mul_f64 v[4:5], v[197:198], v[2:3]
	v_mul_f64 v[4:5], v[193:194], v[4:5]
	;; [unrolled: 10-line block ×4, first 2 shown]
	v_mul_f64 v[4:5], v[177:178], v[4:5]
	v_mul_f64 v[2:3], v[119:120], v[2:3]
	v_fma_f64 v[0:1], v[4:5], v[8:9], v[0:1]
	ds_read2_b64 v[4:7], v255 offset0:73 offset1:74
	s_waitcnt lgkmcnt(0)
	buffer_store_dword v4, off, s[24:27], 0 offset:3404 ; 4-byte Folded Spill
	s_nop 0
	buffer_store_dword v5, off, s[24:27], 0 offset:3408 ; 4-byte Folded Spill
	buffer_store_dword v6, off, s[24:27], 0 offset:3412 ; 4-byte Folded Spill
	;; [unrolled: 1-line block ×3, first 2 shown]
	v_fma_f64 v[0:1], v[2:3], v[6:7], v[0:1]
	ds_read_b64 v[2:3], v36 offset:96
	ds_read_b64 v[4:5], v136 offset:96
	ds_read2_b64 v[19:22], v255 offset0:74 offset1:75
	s_waitcnt lgkmcnt(0)
	buffer_store_dword v19, off, s[24:27], 0 offset:3484 ; 4-byte Folded Spill
	s_nop 0
	buffer_store_dword v20, off, s[24:27], 0 offset:3488 ; 4-byte Folded Spill
	buffer_store_dword v21, off, s[24:27], 0 offset:3492 ; 4-byte Folded Spill
	buffer_store_dword v22, off, s[24:27], 0 offset:3496 ; 4-byte Folded Spill
	v_mul_f64 v[2:3], v[2:3], v[4:5]
	v_mul_f64 v[4:5], v[13:14], v[2:3]
	;; [unrolled: 1-line block ×5, first 2 shown]
	v_fma_f64 v[0:1], v[21:22], v[6:7], v[0:1]
	ds_read2_b64 v[19:22], v255 offset0:75 offset1:76
	s_waitcnt lgkmcnt(0)
	buffer_store_dword v19, off, s[24:27], 0 offset:3420 ; 4-byte Folded Spill
	s_nop 0
	buffer_store_dword v20, off, s[24:27], 0 offset:3424 ; 4-byte Folded Spill
	buffer_store_dword v21, off, s[24:27], 0 offset:3428 ; 4-byte Folded Spill
	buffer_store_dword v22, off, s[24:27], 0 offset:3432 ; 4-byte Folded Spill
	v_mul_f64 v[6:7], v[197:198], v[4:5]
	v_mul_f64 v[6:7], v[193:194], v[6:7]
	v_fma_f64 v[0:1], v[21:22], v[6:7], v[0:1]
	ds_read2_b64 v[19:22], v255 offset0:76 offset1:77
	s_waitcnt lgkmcnt(0)
	buffer_store_dword v19, off, s[24:27], 0 offset:3436 ; 4-byte Folded Spill
	s_nop 0
	buffer_store_dword v20, off, s[24:27], 0 offset:3440 ; 4-byte Folded Spill
	buffer_store_dword v21, off, s[24:27], 0 offset:3444 ; 4-byte Folded Spill
	buffer_store_dword v22, off, s[24:27], 0 offset:3448 ; 4-byte Folded Spill
	v_mul_f64 v[6:7], v[189:190], v[4:5]
	v_mul_f64 v[6:7], v[185:186], v[6:7]
	;; [unrolled: 10-line block ×3, first 2 shown]
	v_mul_f64 v[6:7], v[177:178], v[6:7]
	v_mul_f64 v[4:5], v[119:120], v[4:5]
	v_fma_f64 v[0:1], v[21:22], v[6:7], v[0:1]
	ds_read2_b64 v[6:9], v255 offset0:78 offset1:79
	s_waitcnt lgkmcnt(0)
	buffer_store_dword v6, off, s[24:27], 0 offset:3468 ; 4-byte Folded Spill
	s_nop 0
	buffer_store_dword v7, off, s[24:27], 0 offset:3472 ; 4-byte Folded Spill
	buffer_store_dword v8, off, s[24:27], 0 offset:3476 ; 4-byte Folded Spill
	;; [unrolled: 1-line block ×3, first 2 shown]
	v_fma_f64 v[0:1], v[4:5], v[8:9], v[0:1]
	v_mul_f64 v[4:5], v[33:34], v[2:3]
	buffer_store_dword v31, off, s[24:27], 0 offset:2908 ; 4-byte Folded Spill
	s_nop 0
	buffer_store_dword v32, off, s[24:27], 0 offset:2912 ; 4-byte Folded Spill
	buffer_store_dword v33, off, s[24:27], 0 offset:2916 ; 4-byte Folded Spill
	;; [unrolled: 1-line block ×3, first 2 shown]
	ds_read2_b64 v[19:22], v255 offset0:79 offset1:80
	s_waitcnt lgkmcnt(0)
	buffer_store_dword v19, off, s[24:27], 0 offset:3516 ; 4-byte Folded Spill
	s_nop 0
	buffer_store_dword v20, off, s[24:27], 0 offset:3520 ; 4-byte Folded Spill
	buffer_store_dword v21, off, s[24:27], 0 offset:3524 ; 4-byte Folded Spill
	;; [unrolled: 1-line block ×3, first 2 shown]
	v_mul_f64 v[4:5], v[91:92], v[4:5]
	v_mul_f64 v[6:7], v[11:12], v[4:5]
	;; [unrolled: 1-line block ×3, first 2 shown]
	v_fma_f64 v[0:1], v[6:7], v[21:22], v[0:1]
	ds_read2_b64 v[19:22], v255 offset0:80 offset1:81
	s_waitcnt lgkmcnt(0)
	buffer_store_dword v19, off, s[24:27], 0 offset:3500 ; 4-byte Folded Spill
	s_nop 0
	buffer_store_dword v20, off, s[24:27], 0 offset:3504 ; 4-byte Folded Spill
	buffer_store_dword v21, off, s[24:27], 0 offset:3508 ; 4-byte Folded Spill
	buffer_store_dword v22, off, s[24:27], 0 offset:3512 ; 4-byte Folded Spill
	v_mul_f64 v[6:7], v[197:198], v[4:5]
	v_mul_f64 v[6:7], v[193:194], v[6:7]
	v_fma_f64 v[0:1], v[6:7], v[21:22], v[0:1]
	ds_read2_b64 v[19:22], v255 offset0:81 offset1:82
	s_waitcnt lgkmcnt(0)
	buffer_store_dword v19, off, s[24:27], 0 offset:3532 ; 4-byte Folded Spill
	s_nop 0
	buffer_store_dword v20, off, s[24:27], 0 offset:3536 ; 4-byte Folded Spill
	buffer_store_dword v21, off, s[24:27], 0 offset:3540 ; 4-byte Folded Spill
	buffer_store_dword v22, off, s[24:27], 0 offset:3544 ; 4-byte Folded Spill
	v_mul_f64 v[6:7], v[189:190], v[4:5]
	v_mul_f64 v[6:7], v[185:186], v[6:7]
	;; [unrolled: 10-line block ×3, first 2 shown]
	v_mul_f64 v[6:7], v[177:178], v[6:7]
	v_mul_f64 v[4:5], v[119:120], v[4:5]
	v_fma_f64 v[0:1], v[6:7], v[21:22], v[0:1]
	ds_read2_b64 v[6:9], v255 offset0:83 offset1:84
	s_waitcnt lgkmcnt(0)
	buffer_store_dword v6, off, s[24:27], 0 offset:3564 ; 4-byte Folded Spill
	s_nop 0
	buffer_store_dword v7, off, s[24:27], 0 offset:3568 ; 4-byte Folded Spill
	buffer_store_dword v8, off, s[24:27], 0 offset:3572 ; 4-byte Folded Spill
	buffer_store_dword v9, off, s[24:27], 0 offset:3576 ; 4-byte Folded Spill
	v_fma_f64 v[0:1], v[4:5], v[8:9], v[0:1]
	v_mul_f64 v[4:5], v[29:30], v[2:3]
	buffer_store_dword v27, off, s[24:27], s10 ; 4-byte Folded Spill
	s_nop 0
	buffer_store_dword v28, off, s[24:27], s10 offset:4 ; 4-byte Folded Spill
	buffer_store_dword v29, off, s[24:27], s10 offset:8 ; 4-byte Folded Spill
	;; [unrolled: 1-line block ×3, first 2 shown]
	ds_read2_b64 v[19:22], v255 offset0:84 offset1:85
	s_waitcnt lgkmcnt(0)
	buffer_store_dword v19, off, s[24:27], 0 offset:3596 ; 4-byte Folded Spill
	s_nop 0
	buffer_store_dword v20, off, s[24:27], 0 offset:3600 ; 4-byte Folded Spill
	buffer_store_dword v21, off, s[24:27], 0 offset:3604 ; 4-byte Folded Spill
	;; [unrolled: 1-line block ×3, first 2 shown]
	v_mul_f64 v[4:5], v[87:88], v[4:5]
	s_mov_b32 s10, 0x41700
	v_mul_f64 v[6:7], v[11:12], v[4:5]
	v_mul_f64 v[6:7], v[169:170], v[6:7]
	v_fma_f64 v[0:1], v[6:7], v[21:22], v[0:1]
	ds_read2_b64 v[19:22], v255 offset0:85 offset1:86
	s_waitcnt lgkmcnt(0)
	buffer_store_dword v19, off, s[24:27], 0 offset:3580 ; 4-byte Folded Spill
	s_nop 0
	buffer_store_dword v20, off, s[24:27], 0 offset:3584 ; 4-byte Folded Spill
	buffer_store_dword v21, off, s[24:27], 0 offset:3588 ; 4-byte Folded Spill
	buffer_store_dword v22, off, s[24:27], 0 offset:3592 ; 4-byte Folded Spill
	v_mul_f64 v[6:7], v[197:198], v[4:5]
	v_mul_f64 v[6:7], v[193:194], v[6:7]
	v_fma_f64 v[0:1], v[6:7], v[21:22], v[0:1]
	ds_read2_b64 v[19:22], v255 offset0:86 offset1:87
	s_waitcnt lgkmcnt(0)
	buffer_store_dword v19, off, s[24:27], 0 offset:3612 ; 4-byte Folded Spill
	s_nop 0
	buffer_store_dword v20, off, s[24:27], 0 offset:3616 ; 4-byte Folded Spill
	buffer_store_dword v21, off, s[24:27], 0 offset:3620 ; 4-byte Folded Spill
	buffer_store_dword v22, off, s[24:27], 0 offset:3624 ; 4-byte Folded Spill
	v_mul_f64 v[6:7], v[189:190], v[4:5]
	v_mul_f64 v[6:7], v[185:186], v[6:7]
	v_fma_f64 v[0:1], v[6:7], v[21:22], v[0:1]
	ds_read2_b64 v[19:22], v255 offset0:87 offset1:88
	s_waitcnt lgkmcnt(0)
	buffer_store_dword v19, off, s[24:27], 0 offset:3628 ; 4-byte Folded Spill
	s_nop 0
	buffer_store_dword v20, off, s[24:27], 0 offset:3632 ; 4-byte Folded Spill
	buffer_store_dword v21, off, s[24:27], 0 offset:3636 ; 4-byte Folded Spill
	buffer_store_dword v22, off, s[24:27], 0 offset:3640 ; 4-byte Folded Spill
	v_mul_f64 v[6:7], v[181:182], v[4:5]
	v_mul_f64 v[4:5], v[173:174], v[4:5]
	;; [unrolled: 1-line block ×4, first 2 shown]
	v_fma_f64 v[0:1], v[6:7], v[21:22], v[0:1]
	ds_read2_b64 v[6:9], v255 offset0:88 offset1:89
	s_waitcnt lgkmcnt(0)
	buffer_store_dword v6, off, s[24:27], 0 offset:3644 ; 4-byte Folded Spill
	s_nop 0
	buffer_store_dword v7, off, s[24:27], 0 offset:3648 ; 4-byte Folded Spill
	buffer_store_dword v8, off, s[24:27], 0 offset:3652 ; 4-byte Folded Spill
	;; [unrolled: 1-line block ×3, first 2 shown]
	v_fma_f64 v[0:1], v[4:5], v[8:9], v[0:1]
	v_mul_f64 v[4:5], v[25:26], v[2:3]
	buffer_store_dword v23, off, s[24:27], 0 offset:2876 ; 4-byte Folded Spill
	s_nop 0
	buffer_store_dword v24, off, s[24:27], 0 offset:2880 ; 4-byte Folded Spill
	buffer_store_dword v25, off, s[24:27], 0 offset:2884 ; 4-byte Folded Spill
	;; [unrolled: 1-line block ×3, first 2 shown]
	ds_read2_b64 v[19:22], v255 offset0:89 offset1:90
	s_waitcnt lgkmcnt(0)
	buffer_store_dword v19, off, s[24:27], 0 offset:3676 ; 4-byte Folded Spill
	s_nop 0
	buffer_store_dword v20, off, s[24:27], 0 offset:3680 ; 4-byte Folded Spill
	buffer_store_dword v21, off, s[24:27], 0 offset:3684 ; 4-byte Folded Spill
	;; [unrolled: 1-line block ×3, first 2 shown]
	v_mul_f64 v[4:5], v[83:84], v[4:5]
	v_mul_f64 v[2:3], v[17:18], v[2:3]
	;; [unrolled: 1-line block ×5, first 2 shown]
	v_fma_f64 v[0:1], v[6:7], v[21:22], v[0:1]
	ds_read2_b64 v[19:22], v255 offset0:90 offset1:91
	s_waitcnt lgkmcnt(0)
	buffer_store_dword v19, off, s[24:27], 0 offset:3660 ; 4-byte Folded Spill
	s_nop 0
	buffer_store_dword v20, off, s[24:27], 0 offset:3664 ; 4-byte Folded Spill
	buffer_store_dword v21, off, s[24:27], 0 offset:3668 ; 4-byte Folded Spill
	buffer_store_dword v22, off, s[24:27], 0 offset:3672 ; 4-byte Folded Spill
	v_mul_f64 v[6:7], v[197:198], v[4:5]
	v_mul_f64 v[6:7], v[193:194], v[6:7]
	v_fma_f64 v[0:1], v[6:7], v[21:22], v[0:1]
	ds_read2_b64 v[19:22], v255 offset0:91 offset1:92
	s_waitcnt lgkmcnt(0)
	buffer_store_dword v19, off, s[24:27], 0 offset:3692 ; 4-byte Folded Spill
	s_nop 0
	buffer_store_dword v20, off, s[24:27], 0 offset:3696 ; 4-byte Folded Spill
	buffer_store_dword v21, off, s[24:27], 0 offset:3700 ; 4-byte Folded Spill
	buffer_store_dword v22, off, s[24:27], 0 offset:3704 ; 4-byte Folded Spill
	v_mul_f64 v[6:7], v[189:190], v[4:5]
	v_mul_f64 v[6:7], v[185:186], v[6:7]
	;; [unrolled: 10-line block ×3, first 2 shown]
	v_mul_f64 v[6:7], v[177:178], v[6:7]
	v_mul_f64 v[4:5], v[119:120], v[4:5]
	v_fma_f64 v[0:1], v[6:7], v[21:22], v[0:1]
	ds_read2_b64 v[6:9], v255 offset0:93 offset1:94
	s_waitcnt lgkmcnt(0)
	buffer_store_dword v6, off, s[24:27], 0 offset:3724 ; 4-byte Folded Spill
	s_nop 0
	buffer_store_dword v7, off, s[24:27], 0 offset:3728 ; 4-byte Folded Spill
	buffer_store_dword v8, off, s[24:27], 0 offset:3732 ; 4-byte Folded Spill
	;; [unrolled: 1-line block ×3, first 2 shown]
	buffer_store_dword v15, off, s[24:27], s10 ; 4-byte Folded Spill
	s_nop 0
	buffer_store_dword v16, off, s[24:27], s10 offset:4 ; 4-byte Folded Spill
	buffer_store_dword v17, off, s[24:27], s10 offset:8 ; 4-byte Folded Spill
	;; [unrolled: 1-line block ×3, first 2 shown]
	s_mov_b32 s10, 0x3ff00
	v_fma_f64 v[0:1], v[4:5], v[8:9], v[0:1]
	ds_read2_b64 v[6:9], v255 offset0:94 offset1:95
	s_waitcnt lgkmcnt(0)
	buffer_store_dword v6, off, s[24:27], 0 offset:3756 ; 4-byte Folded Spill
	s_nop 0
	buffer_store_dword v7, off, s[24:27], 0 offset:3760 ; 4-byte Folded Spill
	buffer_store_dword v8, off, s[24:27], 0 offset:3764 ; 4-byte Folded Spill
	buffer_store_dword v9, off, s[24:27], 0 offset:3768 ; 4-byte Folded Spill
	v_mul_f64 v[4:5], v[11:12], v[2:3]
	v_mul_f64 v[4:5], v[169:170], v[4:5]
	v_fma_f64 v[0:1], v[4:5], v[8:9], v[0:1]
	ds_read2_b64 v[6:9], v255 offset0:95 offset1:96
	s_waitcnt lgkmcnt(0)
	buffer_store_dword v6, off, s[24:27], 0 offset:3740 ; 4-byte Folded Spill
	s_nop 0
	buffer_store_dword v7, off, s[24:27], 0 offset:3744 ; 4-byte Folded Spill
	buffer_store_dword v8, off, s[24:27], 0 offset:3748 ; 4-byte Folded Spill
	buffer_store_dword v9, off, s[24:27], 0 offset:3752 ; 4-byte Folded Spill
	v_mul_f64 v[4:5], v[197:198], v[2:3]
	v_mul_f64 v[4:5], v[193:194], v[4:5]
	;; [unrolled: 10-line block ×4, first 2 shown]
	v_mul_f64 v[4:5], v[177:178], v[4:5]
	v_mul_f64 v[2:3], v[119:120], v[2:3]
	v_fma_f64 v[0:1], v[4:5], v[8:9], v[0:1]
	ds_read2_b64 v[4:7], v255 offset0:98 offset1:99
	s_waitcnt lgkmcnt(0)
	buffer_store_dword v4, off, s[24:27], 0 offset:3804 ; 4-byte Folded Spill
	s_nop 0
	buffer_store_dword v5, off, s[24:27], 0 offset:3808 ; 4-byte Folded Spill
	buffer_store_dword v6, off, s[24:27], 0 offset:3812 ; 4-byte Folded Spill
	;; [unrolled: 1-line block ×3, first 2 shown]
	v_fma_f64 v[0:1], v[2:3], v[6:7], v[0:1]
	ds_read_b64 v[2:3], v36 offset:128
	ds_read_b64 v[4:5], v136 offset:128
	ds_read2_b64 v[19:22], v255 offset0:99 offset1:100
	s_waitcnt lgkmcnt(0)
	buffer_store_dword v19, off, s[24:27], 0 offset:3884 ; 4-byte Folded Spill
	s_nop 0
	buffer_store_dword v20, off, s[24:27], 0 offset:3888 ; 4-byte Folded Spill
	buffer_store_dword v21, off, s[24:27], 0 offset:3892 ; 4-byte Folded Spill
	;; [unrolled: 1-line block ×3, first 2 shown]
	v_mul_f64 v[2:3], v[2:3], v[4:5]
	v_mul_f64 v[4:5], v[13:14], v[2:3]
	;; [unrolled: 1-line block ×5, first 2 shown]
	v_fma_f64 v[0:1], v[21:22], v[6:7], v[0:1]
	ds_read2_b64 v[19:22], v255 offset0:100 offset1:101
	s_waitcnt lgkmcnt(0)
	buffer_store_dword v19, off, s[24:27], 0 offset:3820 ; 4-byte Folded Spill
	s_nop 0
	buffer_store_dword v20, off, s[24:27], 0 offset:3824 ; 4-byte Folded Spill
	buffer_store_dword v21, off, s[24:27], 0 offset:3828 ; 4-byte Folded Spill
	buffer_store_dword v22, off, s[24:27], 0 offset:3832 ; 4-byte Folded Spill
	v_mul_f64 v[6:7], v[197:198], v[4:5]
	v_mul_f64 v[6:7], v[193:194], v[6:7]
	v_fma_f64 v[0:1], v[21:22], v[6:7], v[0:1]
	ds_read2_b64 v[19:22], v255 offset0:101 offset1:102
	s_waitcnt lgkmcnt(0)
	buffer_store_dword v19, off, s[24:27], 0 offset:3836 ; 4-byte Folded Spill
	s_nop 0
	buffer_store_dword v20, off, s[24:27], 0 offset:3840 ; 4-byte Folded Spill
	buffer_store_dword v21, off, s[24:27], 0 offset:3844 ; 4-byte Folded Spill
	buffer_store_dword v22, off, s[24:27], 0 offset:3848 ; 4-byte Folded Spill
	v_mul_f64 v[6:7], v[189:190], v[4:5]
	v_mul_f64 v[6:7], v[185:186], v[6:7]
	v_fma_f64 v[0:1], v[21:22], v[6:7], v[0:1]
	ds_read2_b64 v[19:22], v255 offset0:102 offset1:103
	s_waitcnt lgkmcnt(0)
	buffer_store_dword v19, off, s[24:27], 0 offset:3852 ; 4-byte Folded Spill
	s_nop 0
	buffer_store_dword v20, off, s[24:27], 0 offset:3856 ; 4-byte Folded Spill
	buffer_store_dword v21, off, s[24:27], 0 offset:3860 ; 4-byte Folded Spill
	buffer_store_dword v22, off, s[24:27], 0 offset:3864 ; 4-byte Folded Spill
	v_mul_f64 v[6:7], v[181:182], v[4:5]
	v_mul_f64 v[4:5], v[173:174], v[4:5]
	v_mul_f64 v[6:7], v[177:178], v[6:7]
	v_mul_f64 v[4:5], v[119:120], v[4:5]
	v_fma_f64 v[0:1], v[21:22], v[6:7], v[0:1]
	ds_read2_b64 v[6:9], v255 offset0:103 offset1:104
	s_waitcnt lgkmcnt(0)
	buffer_store_dword v6, off, s[24:27], 0 offset:3868 ; 4-byte Folded Spill
	s_nop 0
	buffer_store_dword v7, off, s[24:27], 0 offset:3872 ; 4-byte Folded Spill
	buffer_store_dword v8, off, s[24:27], 0 offset:3876 ; 4-byte Folded Spill
	buffer_store_dword v9, off, s[24:27], 0 offset:3880 ; 4-byte Folded Spill
	ds_read2_b64 v[19:22], v255 offset0:104 offset1:105
	s_waitcnt lgkmcnt(0)
	buffer_store_dword v19, off, s[24:27], 0 offset:3916 ; 4-byte Folded Spill
	s_nop 0
	buffer_store_dword v20, off, s[24:27], 0 offset:3920 ; 4-byte Folded Spill
	buffer_store_dword v21, off, s[24:27], 0 offset:3924 ; 4-byte Folded Spill
	buffer_store_dword v22, off, s[24:27], 0 offset:3928 ; 4-byte Folded Spill
	v_fma_f64 v[0:1], v[4:5], v[8:9], v[0:1]
	v_mul_f64 v[4:5], v[33:34], v[2:3]
	v_mul_f64 v[4:5], v[91:92], v[4:5]
	v_mul_f64 v[6:7], v[11:12], v[4:5]
	v_mul_f64 v[6:7], v[169:170], v[6:7]
	v_fma_f64 v[0:1], v[6:7], v[21:22], v[0:1]
	ds_read2_b64 v[19:22], v255 offset0:105 offset1:106
	s_waitcnt lgkmcnt(0)
	buffer_store_dword v19, off, s[24:27], 0 offset:3900 ; 4-byte Folded Spill
	s_nop 0
	buffer_store_dword v20, off, s[24:27], 0 offset:3904 ; 4-byte Folded Spill
	buffer_store_dword v21, off, s[24:27], 0 offset:3908 ; 4-byte Folded Spill
	buffer_store_dword v22, off, s[24:27], 0 offset:3912 ; 4-byte Folded Spill
	v_mul_f64 v[6:7], v[197:198], v[4:5]
	v_mul_f64 v[6:7], v[193:194], v[6:7]
	v_fma_f64 v[0:1], v[6:7], v[21:22], v[0:1]
	ds_read2_b64 v[19:22], v255 offset0:106 offset1:107
	s_waitcnt lgkmcnt(0)
	buffer_store_dword v19, off, s[24:27], 0 offset:3932 ; 4-byte Folded Spill
	s_nop 0
	buffer_store_dword v20, off, s[24:27], 0 offset:3936 ; 4-byte Folded Spill
	buffer_store_dword v21, off, s[24:27], 0 offset:3940 ; 4-byte Folded Spill
	buffer_store_dword v22, off, s[24:27], 0 offset:3944 ; 4-byte Folded Spill
	v_mul_f64 v[6:7], v[189:190], v[4:5]
	v_mul_f64 v[6:7], v[185:186], v[6:7]
	v_fma_f64 v[0:1], v[6:7], v[21:22], v[0:1]
	ds_read2_b64 v[19:22], v255 offset0:107 offset1:108
	s_waitcnt lgkmcnt(0)
	buffer_store_dword v19, off, s[24:27], 0 offset:3948 ; 4-byte Folded Spill
	s_nop 0
	buffer_store_dword v20, off, s[24:27], 0 offset:3952 ; 4-byte Folded Spill
	buffer_store_dword v21, off, s[24:27], 0 offset:3956 ; 4-byte Folded Spill
	buffer_store_dword v22, off, s[24:27], 0 offset:3960 ; 4-byte Folded Spill
	v_mul_f64 v[6:7], v[181:182], v[4:5]
	v_mul_f64 v[4:5], v[173:174], v[4:5]
	v_mul_f64 v[6:7], v[177:178], v[6:7]
	v_mul_f64 v[4:5], v[119:120], v[4:5]
	v_fma_f64 v[0:1], v[6:7], v[21:22], v[0:1]
	ds_read2_b64 v[6:9], v255 offset0:108 offset1:109
	s_waitcnt lgkmcnt(0)
	buffer_store_dword v6, off, s[24:27], 0 offset:3964 ; 4-byte Folded Spill
	s_nop 0
	buffer_store_dword v7, off, s[24:27], 0 offset:3968 ; 4-byte Folded Spill
	buffer_store_dword v8, off, s[24:27], 0 offset:3972 ; 4-byte Folded Spill
	buffer_store_dword v9, off, s[24:27], 0 offset:3976 ; 4-byte Folded Spill
	ds_read2_b64 v[19:22], v255 offset0:109 offset1:110
	s_waitcnt lgkmcnt(0)
	buffer_store_dword v19, off, s[24:27], 0 offset:3996 ; 4-byte Folded Spill
	s_nop 0
	buffer_store_dword v20, off, s[24:27], 0 offset:4000 ; 4-byte Folded Spill
	buffer_store_dword v21, off, s[24:27], 0 offset:4004 ; 4-byte Folded Spill
	buffer_store_dword v22, off, s[24:27], 0 offset:4008 ; 4-byte Folded Spill
	v_fma_f64 v[0:1], v[4:5], v[8:9], v[0:1]
	v_mul_f64 v[4:5], v[29:30], v[2:3]
	v_mul_f64 v[4:5], v[87:88], v[4:5]
	v_mul_f64 v[6:7], v[11:12], v[4:5]
	v_mul_f64 v[6:7], v[169:170], v[6:7]
	;; [unrolled: 52-line block ×3, first 2 shown]
	v_mul_f64 v[6:7], v[11:12], v[4:5]
	v_mul_f64 v[6:7], v[169:170], v[6:7]
	v_fma_f64 v[0:1], v[6:7], v[21:22], v[0:1]
	ds_read2_b64 v[19:22], v255 offset0:115 offset1:116
	s_waitcnt lgkmcnt(0)
	buffer_store_dword v19, off, s[24:27], 0 offset:4060 ; 4-byte Folded Spill
	s_nop 0
	buffer_store_dword v20, off, s[24:27], 0 offset:4064 ; 4-byte Folded Spill
	buffer_store_dword v21, off, s[24:27], 0 offset:4068 ; 4-byte Folded Spill
	;; [unrolled: 1-line block ×3, first 2 shown]
	v_mul_f64 v[6:7], v[197:198], v[4:5]
	v_mul_f64 v[6:7], v[193:194], v[6:7]
	v_fma_f64 v[0:1], v[6:7], v[21:22], v[0:1]
	ds_read2_b64 v[19:22], v255 offset0:116 offset1:117
	s_waitcnt lgkmcnt(0)
	buffer_store_dword v19, off, s[24:27], s10 ; 4-byte Folded Spill
	s_nop 0
	buffer_store_dword v20, off, s[24:27], s10 offset:4 ; 4-byte Folded Spill
	buffer_store_dword v21, off, s[24:27], s10 offset:8 ; 4-byte Folded Spill
	;; [unrolled: 1-line block ×3, first 2 shown]
	v_mul_f64 v[6:7], v[189:190], v[4:5]
	s_mov_b32 s10, 0x40300
	v_mul_f64 v[6:7], v[185:186], v[6:7]
	v_fma_f64 v[0:1], v[6:7], v[21:22], v[0:1]
	ds_read2_b64 v[19:22], v255 offset0:117 offset1:118
	s_waitcnt lgkmcnt(0)
	buffer_store_dword v19, off, s[24:27], s10 ; 4-byte Folded Spill
	s_nop 0
	buffer_store_dword v20, off, s[24:27], s10 offset:4 ; 4-byte Folded Spill
	buffer_store_dword v21, off, s[24:27], s10 offset:8 ; 4-byte Folded Spill
	;; [unrolled: 1-line block ×3, first 2 shown]
	v_mul_f64 v[6:7], v[181:182], v[4:5]
	s_mov_b32 s10, 0x40700
	v_mul_f64 v[4:5], v[173:174], v[4:5]
	v_mul_f64 v[6:7], v[177:178], v[6:7]
	;; [unrolled: 1-line block ×3, first 2 shown]
	v_fma_f64 v[0:1], v[6:7], v[21:22], v[0:1]
	ds_read2_b64 v[6:9], v255 offset0:118 offset1:119
	s_waitcnt lgkmcnt(0)
	buffer_store_dword v6, off, s[24:27], s10 ; 4-byte Folded Spill
	s_nop 0
	buffer_store_dword v7, off, s[24:27], s10 offset:4 ; 4-byte Folded Spill
	buffer_store_dword v8, off, s[24:27], s10 offset:8 ; 4-byte Folded Spill
	;; [unrolled: 1-line block ×3, first 2 shown]
	s_mov_b32 s10, 0x40b00
	v_fma_f64 v[0:1], v[4:5], v[8:9], v[0:1]
	ds_read2_b64 v[6:9], v255 offset0:119 offset1:120
	s_waitcnt lgkmcnt(0)
	buffer_store_dword v6, off, s[24:27], s10 ; 4-byte Folded Spill
	s_nop 0
	buffer_store_dword v7, off, s[24:27], s10 offset:4 ; 4-byte Folded Spill
	buffer_store_dword v8, off, s[24:27], s10 offset:8 ; 4-byte Folded Spill
	;; [unrolled: 1-line block ×3, first 2 shown]
	v_mul_f64 v[4:5], v[11:12], v[2:3]
	s_mov_b32 s10, 0x43800
	v_mul_f64 v[4:5], v[169:170], v[4:5]
	v_fma_f64 v[0:1], v[4:5], v[8:9], v[0:1]
	v_mul_f64 v[4:5], v[197:198], v[2:3]
	ds_read2_b64 v[6:9], v255 offset0:120 offset1:121
	s_waitcnt lgkmcnt(0)
	v_mov_b32_e32 v170, v7
	v_mov_b32_e32 v169, v6
	v_mul_f64 v[4:5], v[193:194], v[4:5]
	v_fma_f64 v[0:1], v[4:5], v[8:9], v[0:1]
	v_mul_f64 v[4:5], v[189:190], v[2:3]
	ds_read2_b64 v[6:9], v255 offset0:121 offset1:122
	v_mul_f64 v[4:5], v[185:186], v[4:5]
	s_waitcnt lgkmcnt(0)
	v_mov_b32_e32 v186, v7
	v_mov_b32_e32 v185, v6
	v_fma_f64 v[0:1], v[4:5], v[8:9], v[0:1]
	v_mul_f64 v[4:5], v[181:182], v[2:3]
	v_mul_f64 v[2:3], v[173:174], v[2:3]
	ds_read2_b64 v[6:9], v255 offset0:122 offset1:123
	v_mul_f64 v[4:5], v[177:178], v[4:5]
	v_mul_f64 v[2:3], v[119:120], v[2:3]
	s_waitcnt lgkmcnt(0)
	v_mov_b32_e32 v178, v7
	v_mov_b32_e32 v177, v6
	v_fma_f64 v[0:1], v[4:5], v[8:9], v[0:1]
	ds_read2_b64 v[4:7], v255 offset0:123 offset1:124
	s_waitcnt lgkmcnt(0)
	v_mov_b32_e32 v174, v5
	v_mov_b32_e32 v173, v4
	v_fma_f64 v[0:1], v[2:3], v[6:7], v[0:1]
	global_store_dwordx2 v[55:56], v[0:1], off offset:2048
	ds_read_b64 v[107:108], v131
	ds_read2_b64 v[207:210], v255 offset0:126 offset1:127
	ds_read_b64 v[103:104], v131 offset:32
	ds_read_b64 v[105:106], v255 offset:1048
	;; [unrolled: 1-line block ×8, first 2 shown]
	ds_read_b64 v[127:128], v132
	ds_read_b64 v[115:116], v132 offset:32
	ds_read_b64 v[113:114], v132 offset:64
	;; [unrolled: 1-line block ×4, first 2 shown]
	ds_read_b64 v[0:1], v36
	ds_read_b64 v[2:3], v36 offset:32
	ds_read_b64 v[4:5], v136
	ds_read_b64 v[6:7], v136 offset:32
	ds_read_b64 v[10:11], v255
	ds_read2_b64 v[159:162], v255 offset1:1
	ds_read2_b64 v[151:154], v255 offset0:1 offset1:2
	ds_read2_b64 v[147:150], v255 offset0:2 offset1:3
	ds_read2_b64 v[20:23], v255 offset0:3 offset1:4
	ds_read2_b64 v[16:19], v255 offset0:4 offset1:5
	ds_read2_b64 v[211:214], v255 offset0:5 offset1:6
	ds_read2_b64 v[12:15], v255 offset0:6 offset1:7
	ds_read2_b64 v[143:146], v255 offset0:8 offset1:9
	ds_read2_b64 v[99:102], v255 offset0:12 offset1:13
	s_waitcnt lgkmcnt(11)
	v_mul_f64 v[0:1], v[0:1], v[4:5]
	ds_read2_b64 v[63:66], v255 offset0:14 offset1:15
	ds_read2_b64 v[59:62], v255 offset0:16 offset1:17
	s_waitcnt lgkmcnt(4)
	v_mov_b32_e32 v182, v13
	v_mov_b32_e32 v181, v12
	ds_read2_b64 v[197:200], v255 offset0:17 offset1:18
	ds_read2_b64 v[137:140], v255 offset0:18 offset1:19
	;; [unrolled: 1-line block ×4, first 2 shown]
	v_mul_f64 v[4:5], v[127:128], v[0:1]
	ds_read2_b64 v[119:122], v255 offset0:21 offset1:22
	ds_read2_b64 v[45:48], v255 offset0:22 offset1:23
	v_mul_f64 v[2:3], v[2:3], v[6:7]
	ds_read2_b64 v[41:44], v255 offset0:23 offset1:24
	ds_read2_b64 v[37:40], v255 offset0:25 offset1:26
	v_mov_b32_e32 v194, v21
	v_mov_b32_e32 v193, v20
	v_mul_f64 v[4:5], v[209:210], v[4:5]
	v_mov_b32_e32 v190, v17
	v_mov_b32_e32 v189, v16
	ds_read2_b64 v[221:224], v255 offset0:30 offset1:31
	v_mul_f64 v[8:9], v[107:108], v[4:5]
	v_mul_f64 v[8:9], v[209:210], v[8:9]
	v_fma_f64 v[8:9], v[10:11], v[8:9], 0
	v_mul_f64 v[10:11], v[103:104], v[4:5]
	v_mul_f64 v[10:11], v[105:106], v[10:11]
	v_fma_f64 v[8:9], v[161:162], v[10:11], v[8:9]
	v_mul_f64 v[10:11], v[95:96], v[4:5]
	ds_read2_b64 v[161:164], v255 offset0:9 offset1:10
	v_mul_f64 v[10:11], v[97:98], v[10:11]
	v_fma_f64 v[8:9], v[153:154], v[10:11], v[8:9]
	v_mul_f64 v[10:11], v[87:88], v[4:5]
	v_mul_f64 v[4:5], v[79:80], v[4:5]
	;; [unrolled: 1-line block ×4, first 2 shown]
	v_fma_f64 v[8:9], v[149:150], v[10:11], v[8:9]
	v_fma_f64 v[4:5], v[4:5], v[22:23], v[8:9]
	v_mul_f64 v[8:9], v[115:116], v[0:1]
	ds_read2_b64 v[21:24], v255 offset0:26 offset1:27
	v_mul_f64 v[8:9], v[105:106], v[8:9]
	v_mul_f64 v[10:11], v[107:108], v[8:9]
	;; [unrolled: 1-line block ×3, first 2 shown]
	v_fma_f64 v[4:5], v[10:11], v[18:19], v[4:5]
	v_mul_f64 v[10:11], v[103:104], v[8:9]
	ds_read2_b64 v[17:20], v255 offset0:28 offset1:29
	v_mul_f64 v[10:11], v[105:106], v[10:11]
	v_fma_f64 v[4:5], v[10:11], v[213:214], v[4:5]
	v_mul_f64 v[10:11], v[95:96], v[8:9]
	v_mul_f64 v[10:11], v[97:98], v[10:11]
	v_fma_f64 v[4:5], v[10:11], v[14:15], v[4:5]
	v_mul_f64 v[10:11], v[87:88], v[8:9]
	v_mul_f64 v[8:9], v[79:80], v[8:9]
	ds_read2_b64 v[12:15], v255 offset0:7 offset1:8
	s_waitcnt lgkmcnt(0)
	v_mov_b32_e32 v158, v13
	v_mul_f64 v[10:11], v[91:92], v[10:11]
	v_mul_f64 v[8:9], v[83:84], v[8:9]
	v_mov_b32_e32 v157, v12
	v_fma_f64 v[4:5], v[10:11], v[14:15], v[4:5]
	ds_read2_b64 v[12:15], v255 offset0:10 offset1:11
	s_waitcnt lgkmcnt(0)
	v_mov_b32_e32 v154, v13
	v_mov_b32_e32 v153, v12
	v_fma_f64 v[4:5], v[8:9], v[145:146], v[4:5]
	v_mul_f64 v[8:9], v[113:114], v[0:1]
	v_mul_f64 v[8:9], v[97:98], v[8:9]
	;; [unrolled: 1-line block ×4, first 2 shown]
	v_fma_f64 v[4:5], v[10:11], v[163:164], v[4:5]
	v_mul_f64 v[10:11], v[103:104], v[8:9]
	v_mul_f64 v[10:11], v[105:106], v[10:11]
	v_fma_f64 v[4:5], v[10:11], v[14:15], v[4:5]
	v_mul_f64 v[10:11], v[95:96], v[8:9]
	ds_read2_b64 v[12:15], v255 offset0:11 offset1:12
	s_waitcnt lgkmcnt(0)
	v_mov_b32_e32 v150, v13
	v_mov_b32_e32 v149, v12
	v_mul_f64 v[10:11], v[97:98], v[10:11]
	v_fma_f64 v[4:5], v[10:11], v[14:15], v[4:5]
	v_mul_f64 v[10:11], v[87:88], v[8:9]
	v_mul_f64 v[8:9], v[79:80], v[8:9]
	;; [unrolled: 1-line block ×4, first 2 shown]
	v_fma_f64 v[4:5], v[10:11], v[101:102], v[4:5]
	ds_read2_b64 v[10:13], v255 offset0:13 offset1:14
	s_waitcnt lgkmcnt(0)
	v_mov_b32_e32 v146, v11
	v_mov_b32_e32 v145, v10
	v_fma_f64 v[4:5], v[8:9], v[12:13], v[4:5]
	v_mul_f64 v[8:9], v[111:112], v[0:1]
	ds_read2_b64 v[12:15], v255 offset0:15 offset1:16
	v_mul_f64 v[0:1], v[109:110], v[0:1]
	s_waitcnt lgkmcnt(0)
	v_mov_b32_e32 v142, v13
	v_mov_b32_e32 v141, v12
	v_mul_f64 v[8:9], v[91:92], v[8:9]
	v_mul_f64 v[0:1], v[83:84], v[0:1]
	v_mul_f64 v[10:11], v[107:108], v[8:9]
	v_mul_f64 v[10:11], v[209:210], v[10:11]
	v_fma_f64 v[4:5], v[10:11], v[65:66], v[4:5]
	v_mul_f64 v[10:11], v[103:104], v[8:9]
	v_mul_f64 v[10:11], v[105:106], v[10:11]
	v_fma_f64 v[4:5], v[10:11], v[14:15], v[4:5]
	v_mul_f64 v[10:11], v[95:96], v[8:9]
	v_mul_f64 v[10:11], v[97:98], v[10:11]
	;; [unrolled: 3-line block ×3, first 2 shown]
	v_mul_f64 v[10:11], v[91:92], v[10:11]
	v_mul_f64 v[8:9], v[83:84], v[8:9]
	v_fma_f64 v[4:5], v[10:11], v[199:200], v[4:5]
	ds_read2_b64 v[11:14], v255 offset0:29 offset1:30
	v_fma_f64 v[4:5], v[8:9], v[139:140], v[4:5]
	v_mul_f64 v[8:9], v[107:108], v[0:1]
	v_mul_f64 v[8:9], v[209:210], v[8:9]
	v_fma_f64 v[4:5], v[8:9], v[125:126], v[4:5]
	v_mul_f64 v[8:9], v[103:104], v[0:1]
	v_mul_f64 v[8:9], v[105:106], v[8:9]
	v_fma_f64 v[4:5], v[8:9], v[51:52], v[4:5]
	v_mul_f64 v[8:9], v[95:96], v[0:1]
	ds_read2_b64 v[51:54], v255 offset0:24 offset1:25
	v_mul_f64 v[8:9], v[97:98], v[8:9]
	v_fma_f64 v[4:5], v[8:9], v[121:122], v[4:5]
	v_mul_f64 v[8:9], v[87:88], v[0:1]
	v_mul_f64 v[0:1], v[79:80], v[0:1]
	;; [unrolled: 1-line block ×4, first 2 shown]
	v_fma_f64 v[4:5], v[8:9], v[47:48], v[4:5]
	ds_read_b64 v[8:9], v255 offset:264
	v_fma_f64 v[0:1], v[0:1], v[43:44], v[4:5]
	v_mul_f64 v[4:5], v[127:128], v[2:3]
	v_mul_f64 v[4:5], v[209:210], v[4:5]
	v_mul_f64 v[6:7], v[107:108], v[4:5]
	v_mul_f64 v[6:7], v[209:210], v[6:7]
	s_waitcnt lgkmcnt(1)
	v_fma_f64 v[0:1], v[53:54], v[6:7], v[0:1]
	v_mul_f64 v[6:7], v[103:104], v[4:5]
	v_mul_f64 v[6:7], v[105:106], v[6:7]
	v_fma_f64 v[0:1], v[39:40], v[6:7], v[0:1]
	v_mul_f64 v[6:7], v[95:96], v[4:5]
	v_mul_f64 v[6:7], v[97:98], v[6:7]
	;; [unrolled: 3-line block ×3, first 2 shown]
	ds_read2_b64 v[23:26], v255 offset0:27 offset1:28
	v_mul_f64 v[6:7], v[91:92], v[6:7]
	v_mul_f64 v[4:5], v[83:84], v[4:5]
	s_waitcnt lgkmcnt(0)
	v_fma_f64 v[0:1], v[25:26], v[6:7], v[0:1]
	v_fma_f64 v[0:1], v[4:5], v[19:20], v[0:1]
	v_mul_f64 v[4:5], v[115:116], v[2:3]
	v_mul_f64 v[4:5], v[105:106], v[4:5]
	;; [unrolled: 1-line block ×4, first 2 shown]
	v_fma_f64 v[0:1], v[6:7], v[13:14], v[0:1]
	v_mul_f64 v[6:7], v[103:104], v[4:5]
	ds_read2_b64 v[13:16], v255 offset0:31 offset1:32
	v_mul_f64 v[6:7], v[105:106], v[6:7]
	v_fma_f64 v[0:1], v[6:7], v[223:224], v[0:1]
	v_mul_f64 v[6:7], v[95:96], v[4:5]
	v_mul_f64 v[6:7], v[97:98], v[6:7]
	s_waitcnt lgkmcnt(0)
	v_fma_f64 v[0:1], v[6:7], v[15:16], v[0:1]
	v_mul_f64 v[6:7], v[87:88], v[4:5]
	v_mul_f64 v[4:5], v[79:80], v[4:5]
	;; [unrolled: 1-line block ×4, first 2 shown]
	v_fma_f64 v[0:1], v[6:7], v[8:9], v[0:1]
	ds_read_b64 v[6:7], v255 offset:272
	ds_read_b64 v[8:9], v255 offset:280
	s_waitcnt lgkmcnt(1)
	v_fma_f64 v[0:1], v[4:5], v[6:7], v[0:1]
	v_mul_f64 v[4:5], v[113:114], v[2:3]
	v_mul_f64 v[4:5], v[97:98], v[4:5]
	;; [unrolled: 1-line block ×4, first 2 shown]
	s_waitcnt lgkmcnt(0)
	v_fma_f64 v[0:1], v[6:7], v[8:9], v[0:1]
	v_mul_f64 v[6:7], v[103:104], v[4:5]
	ds_read_b64 v[8:9], v255 offset:288
	v_mul_f64 v[6:7], v[105:106], v[6:7]
	s_waitcnt lgkmcnt(0)
	v_fma_f64 v[0:1], v[6:7], v[8:9], v[0:1]
	v_mul_f64 v[6:7], v[95:96], v[4:5]
	ds_read_b64 v[8:9], v255 offset:296
	v_mul_f64 v[6:7], v[97:98], v[6:7]
	s_waitcnt lgkmcnt(0)
	v_fma_f64 v[0:1], v[6:7], v[8:9], v[0:1]
	v_mul_f64 v[6:7], v[87:88], v[4:5]
	v_mul_f64 v[4:5], v[79:80], v[4:5]
	ds_read_b64 v[8:9], v255 offset:304
	v_mul_f64 v[6:7], v[91:92], v[6:7]
	v_mul_f64 v[4:5], v[83:84], v[4:5]
	s_waitcnt lgkmcnt(0)
	v_fma_f64 v[0:1], v[6:7], v[8:9], v[0:1]
	ds_read_b64 v[6:7], v255 offset:312
	ds_read_b64 v[8:9], v255 offset:320
	s_waitcnt lgkmcnt(1)
	v_fma_f64 v[0:1], v[4:5], v[6:7], v[0:1]
	v_mul_f64 v[4:5], v[111:112], v[2:3]
	v_mul_f64 v[2:3], v[109:110], v[2:3]
	;; [unrolled: 1-line block ×6, first 2 shown]
	s_waitcnt lgkmcnt(0)
	v_fma_f64 v[0:1], v[6:7], v[8:9], v[0:1]
	v_mul_f64 v[6:7], v[103:104], v[4:5]
	ds_read_b64 v[8:9], v255 offset:328
	v_mul_f64 v[6:7], v[105:106], v[6:7]
	s_waitcnt lgkmcnt(0)
	v_fma_f64 v[0:1], v[6:7], v[8:9], v[0:1]
	v_mul_f64 v[6:7], v[95:96], v[4:5]
	ds_read_b64 v[8:9], v255 offset:336
	v_mul_f64 v[6:7], v[97:98], v[6:7]
	s_waitcnt lgkmcnt(0)
	v_fma_f64 v[0:1], v[6:7], v[8:9], v[0:1]
	v_mul_f64 v[6:7], v[87:88], v[4:5]
	v_mul_f64 v[4:5], v[79:80], v[4:5]
	ds_read_b64 v[8:9], v255 offset:344
	v_mul_f64 v[6:7], v[91:92], v[6:7]
	v_mul_f64 v[4:5], v[83:84], v[4:5]
	s_waitcnt lgkmcnt(0)
	v_fma_f64 v[0:1], v[6:7], v[8:9], v[0:1]
	ds_read_b64 v[6:7], v255 offset:352
	s_waitcnt lgkmcnt(0)
	v_fma_f64 v[0:1], v[4:5], v[6:7], v[0:1]
	v_mul_f64 v[4:5], v[107:108], v[2:3]
	ds_read_b64 v[6:7], v255 offset:360
	v_mul_f64 v[4:5], v[209:210], v[4:5]
	s_waitcnt lgkmcnt(0)
	v_fma_f64 v[0:1], v[4:5], v[6:7], v[0:1]
	v_mul_f64 v[4:5], v[103:104], v[2:3]
	ds_read_b64 v[6:7], v255 offset:368
	v_mul_f64 v[4:5], v[105:106], v[4:5]
	s_waitcnt lgkmcnt(0)
	v_fma_f64 v[0:1], v[4:5], v[6:7], v[0:1]
	v_mul_f64 v[4:5], v[95:96], v[2:3]
	ds_read_b64 v[6:7], v255 offset:376
	v_mul_f64 v[4:5], v[97:98], v[4:5]
	s_waitcnt lgkmcnt(0)
	v_fma_f64 v[0:1], v[4:5], v[6:7], v[0:1]
	v_mul_f64 v[4:5], v[87:88], v[2:3]
	v_mul_f64 v[2:3], v[79:80], v[2:3]
	ds_read_b64 v[6:7], v255 offset:384
	v_mul_f64 v[4:5], v[91:92], v[4:5]
	v_mul_f64 v[2:3], v[83:84], v[2:3]
	s_waitcnt lgkmcnt(0)
	v_fma_f64 v[0:1], v[4:5], v[6:7], v[0:1]
	ds_read_b64 v[4:5], v255 offset:392
	s_waitcnt lgkmcnt(0)
	v_fma_f64 v[0:1], v[2:3], v[4:5], v[0:1]
	ds_read_b64 v[2:3], v36 offset:64
	ds_read_b64 v[4:5], v136 offset:64
	;; [unrolled: 1-line block ×3, first 2 shown]
	s_waitcnt lgkmcnt(1)
	v_mul_f64 v[2:3], v[2:3], v[4:5]
	v_mul_f64 v[4:5], v[127:128], v[2:3]
	v_mul_f64 v[4:5], v[209:210], v[4:5]
	v_mul_f64 v[6:7], v[107:108], v[4:5]
	v_mul_f64 v[6:7], v[209:210], v[6:7]
	s_waitcnt lgkmcnt(0)
	v_fma_f64 v[0:1], v[8:9], v[6:7], v[0:1]
	v_mul_f64 v[6:7], v[103:104], v[4:5]
	ds_read_b64 v[8:9], v255 offset:408
	v_mul_f64 v[6:7], v[105:106], v[6:7]
	s_waitcnt lgkmcnt(0)
	v_fma_f64 v[0:1], v[8:9], v[6:7], v[0:1]
	v_mul_f64 v[6:7], v[95:96], v[4:5]
	ds_read_b64 v[8:9], v255 offset:416
	v_mul_f64 v[6:7], v[97:98], v[6:7]
	s_waitcnt lgkmcnt(0)
	v_fma_f64 v[0:1], v[8:9], v[6:7], v[0:1]
	v_mul_f64 v[6:7], v[87:88], v[4:5]
	v_mul_f64 v[4:5], v[79:80], v[4:5]
	ds_read_b64 v[8:9], v255 offset:424
	v_mul_f64 v[6:7], v[91:92], v[6:7]
	v_mul_f64 v[4:5], v[83:84], v[4:5]
	s_waitcnt lgkmcnt(0)
	v_fma_f64 v[0:1], v[8:9], v[6:7], v[0:1]
	ds_read_b64 v[6:7], v255 offset:432
	ds_read_b64 v[8:9], v255 offset:440
	s_waitcnt lgkmcnt(1)
	v_fma_f64 v[0:1], v[4:5], v[6:7], v[0:1]
	v_mul_f64 v[4:5], v[115:116], v[2:3]
	v_mul_f64 v[4:5], v[105:106], v[4:5]
	v_mul_f64 v[6:7], v[107:108], v[4:5]
	v_mul_f64 v[6:7], v[209:210], v[6:7]
	s_waitcnt lgkmcnt(0)
	v_fma_f64 v[0:1], v[6:7], v[8:9], v[0:1]
	v_mul_f64 v[6:7], v[103:104], v[4:5]
	ds_read_b64 v[8:9], v255 offset:448
	v_mul_f64 v[6:7], v[105:106], v[6:7]
	s_waitcnt lgkmcnt(0)
	v_fma_f64 v[0:1], v[6:7], v[8:9], v[0:1]
	v_mul_f64 v[6:7], v[95:96], v[4:5]
	ds_read_b64 v[8:9], v255 offset:456
	v_mul_f64 v[6:7], v[97:98], v[6:7]
	s_waitcnt lgkmcnt(0)
	v_fma_f64 v[0:1], v[6:7], v[8:9], v[0:1]
	v_mul_f64 v[6:7], v[87:88], v[4:5]
	v_mul_f64 v[4:5], v[79:80], v[4:5]
	ds_read_b64 v[8:9], v255 offset:464
	v_mul_f64 v[6:7], v[91:92], v[6:7]
	v_mul_f64 v[4:5], v[83:84], v[4:5]
	s_waitcnt lgkmcnt(0)
	v_fma_f64 v[0:1], v[6:7], v[8:9], v[0:1]
	ds_read_b64 v[6:7], v255 offset:472
	ds_read_b64 v[8:9], v255 offset:480
	s_waitcnt lgkmcnt(1)
	v_fma_f64 v[0:1], v[4:5], v[6:7], v[0:1]
	v_mul_f64 v[4:5], v[113:114], v[2:3]
	v_mul_f64 v[4:5], v[97:98], v[4:5]
	v_mul_f64 v[6:7], v[107:108], v[4:5]
	v_mul_f64 v[6:7], v[209:210], v[6:7]
	;; [unrolled: 27-line block ×3, first 2 shown]
	v_mul_f64 v[6:7], v[107:108], v[4:5]
	v_mul_f64 v[6:7], v[209:210], v[6:7]
	s_waitcnt lgkmcnt(0)
	v_fma_f64 v[0:1], v[6:7], v[8:9], v[0:1]
	v_mul_f64 v[6:7], v[103:104], v[4:5]
	ds_read_b64 v[8:9], v255 offset:528
	v_mul_f64 v[6:7], v[105:106], v[6:7]
	s_waitcnt lgkmcnt(0)
	v_fma_f64 v[0:1], v[6:7], v[8:9], v[0:1]
	v_mul_f64 v[6:7], v[95:96], v[4:5]
	ds_read_b64 v[8:9], v255 offset:536
	v_mul_f64 v[6:7], v[97:98], v[6:7]
	s_waitcnt lgkmcnt(0)
	v_fma_f64 v[0:1], v[6:7], v[8:9], v[0:1]
	v_mul_f64 v[6:7], v[87:88], v[4:5]
	v_mul_f64 v[4:5], v[79:80], v[4:5]
	ds_read_b64 v[8:9], v255 offset:544
	v_mul_f64 v[6:7], v[91:92], v[6:7]
	v_mul_f64 v[4:5], v[83:84], v[4:5]
	s_waitcnt lgkmcnt(0)
	v_fma_f64 v[0:1], v[6:7], v[8:9], v[0:1]
	ds_read_b64 v[6:7], v255 offset:552
	s_waitcnt lgkmcnt(0)
	v_fma_f64 v[0:1], v[4:5], v[6:7], v[0:1]
	v_mul_f64 v[4:5], v[107:108], v[2:3]
	ds_read_b64 v[6:7], v255 offset:560
	v_mul_f64 v[4:5], v[209:210], v[4:5]
	s_waitcnt lgkmcnt(0)
	v_fma_f64 v[0:1], v[4:5], v[6:7], v[0:1]
	v_mul_f64 v[4:5], v[103:104], v[2:3]
	ds_read_b64 v[6:7], v255 offset:568
	v_mul_f64 v[4:5], v[105:106], v[4:5]
	;; [unrolled: 5-line block ×3, first 2 shown]
	s_waitcnt lgkmcnt(0)
	v_fma_f64 v[0:1], v[4:5], v[6:7], v[0:1]
	v_mul_f64 v[4:5], v[87:88], v[2:3]
	v_mul_f64 v[2:3], v[79:80], v[2:3]
	ds_read_b64 v[6:7], v255 offset:584
	v_mul_f64 v[4:5], v[91:92], v[4:5]
	v_mul_f64 v[2:3], v[83:84], v[2:3]
	s_waitcnt lgkmcnt(0)
	v_fma_f64 v[0:1], v[4:5], v[6:7], v[0:1]
	ds_read_b64 v[4:5], v255 offset:592
	s_waitcnt lgkmcnt(0)
	v_fma_f64 v[0:1], v[2:3], v[4:5], v[0:1]
	ds_read_b64 v[2:3], v36 offset:96
	ds_read_b64 v[4:5], v136 offset:96
	ds_read_b64 v[8:9], v255 offset:600
	s_waitcnt lgkmcnt(1)
	v_mul_f64 v[2:3], v[2:3], v[4:5]
	v_mul_f64 v[4:5], v[127:128], v[2:3]
	v_mul_f64 v[4:5], v[209:210], v[4:5]
	v_mul_f64 v[6:7], v[107:108], v[4:5]
	v_mul_f64 v[6:7], v[209:210], v[6:7]
	s_waitcnt lgkmcnt(0)
	v_fma_f64 v[0:1], v[8:9], v[6:7], v[0:1]
	v_mul_f64 v[6:7], v[103:104], v[4:5]
	ds_read_b64 v[8:9], v255 offset:608
	v_mul_f64 v[6:7], v[105:106], v[6:7]
	s_waitcnt lgkmcnt(0)
	v_fma_f64 v[0:1], v[8:9], v[6:7], v[0:1]
	v_mul_f64 v[6:7], v[95:96], v[4:5]
	ds_read_b64 v[8:9], v255 offset:616
	v_mul_f64 v[6:7], v[97:98], v[6:7]
	s_waitcnt lgkmcnt(0)
	v_fma_f64 v[0:1], v[8:9], v[6:7], v[0:1]
	v_mul_f64 v[6:7], v[87:88], v[4:5]
	v_mul_f64 v[4:5], v[79:80], v[4:5]
	ds_read_b64 v[8:9], v255 offset:624
	v_mul_f64 v[6:7], v[91:92], v[6:7]
	v_mul_f64 v[4:5], v[83:84], v[4:5]
	s_waitcnt lgkmcnt(0)
	v_fma_f64 v[0:1], v[8:9], v[6:7], v[0:1]
	ds_read_b64 v[6:7], v255 offset:632
	ds_read_b64 v[8:9], v255 offset:640
	s_waitcnt lgkmcnt(1)
	v_fma_f64 v[0:1], v[4:5], v[6:7], v[0:1]
	v_mul_f64 v[4:5], v[115:116], v[2:3]
	v_mul_f64 v[4:5], v[105:106], v[4:5]
	v_mul_f64 v[6:7], v[107:108], v[4:5]
	v_mul_f64 v[6:7], v[209:210], v[6:7]
	s_waitcnt lgkmcnt(0)
	v_fma_f64 v[0:1], v[6:7], v[8:9], v[0:1]
	v_mul_f64 v[6:7], v[103:104], v[4:5]
	ds_read_b64 v[8:9], v255 offset:648
	v_mul_f64 v[6:7], v[105:106], v[6:7]
	s_waitcnt lgkmcnt(0)
	v_fma_f64 v[0:1], v[6:7], v[8:9], v[0:1]
	v_mul_f64 v[6:7], v[95:96], v[4:5]
	ds_read_b64 v[8:9], v255 offset:656
	v_mul_f64 v[6:7], v[97:98], v[6:7]
	s_waitcnt lgkmcnt(0)
	v_fma_f64 v[0:1], v[6:7], v[8:9], v[0:1]
	v_mul_f64 v[6:7], v[87:88], v[4:5]
	v_mul_f64 v[4:5], v[79:80], v[4:5]
	ds_read_b64 v[8:9], v255 offset:664
	v_mul_f64 v[6:7], v[91:92], v[6:7]
	v_mul_f64 v[4:5], v[83:84], v[4:5]
	s_waitcnt lgkmcnt(0)
	v_fma_f64 v[0:1], v[6:7], v[8:9], v[0:1]
	ds_read_b64 v[6:7], v255 offset:672
	ds_read_b64 v[8:9], v255 offset:680
	s_waitcnt lgkmcnt(1)
	v_fma_f64 v[0:1], v[4:5], v[6:7], v[0:1]
	v_mul_f64 v[4:5], v[113:114], v[2:3]
	v_mul_f64 v[4:5], v[97:98], v[4:5]
	v_mul_f64 v[6:7], v[107:108], v[4:5]
	v_mul_f64 v[6:7], v[209:210], v[6:7]
	;; [unrolled: 27-line block ×3, first 2 shown]
	v_mul_f64 v[6:7], v[107:108], v[4:5]
	v_mul_f64 v[6:7], v[209:210], v[6:7]
	s_waitcnt lgkmcnt(0)
	v_fma_f64 v[0:1], v[6:7], v[8:9], v[0:1]
	v_mul_f64 v[6:7], v[103:104], v[4:5]
	ds_read_b64 v[8:9], v255 offset:728
	v_mul_f64 v[6:7], v[105:106], v[6:7]
	s_waitcnt lgkmcnt(0)
	v_fma_f64 v[0:1], v[6:7], v[8:9], v[0:1]
	v_mul_f64 v[6:7], v[95:96], v[4:5]
	ds_read_b64 v[8:9], v255 offset:736
	v_mul_f64 v[6:7], v[97:98], v[6:7]
	s_waitcnt lgkmcnt(0)
	v_fma_f64 v[0:1], v[6:7], v[8:9], v[0:1]
	v_mul_f64 v[6:7], v[87:88], v[4:5]
	v_mul_f64 v[4:5], v[79:80], v[4:5]
	ds_read_b64 v[8:9], v255 offset:744
	v_mul_f64 v[6:7], v[91:92], v[6:7]
	v_mul_f64 v[4:5], v[83:84], v[4:5]
	s_waitcnt lgkmcnt(0)
	v_fma_f64 v[0:1], v[6:7], v[8:9], v[0:1]
	ds_read_b64 v[6:7], v255 offset:752
	s_waitcnt lgkmcnt(0)
	v_fma_f64 v[0:1], v[4:5], v[6:7], v[0:1]
	v_mul_f64 v[4:5], v[107:108], v[2:3]
	ds_read_b64 v[6:7], v255 offset:760
	v_mul_f64 v[4:5], v[209:210], v[4:5]
	s_waitcnt lgkmcnt(0)
	v_fma_f64 v[0:1], v[4:5], v[6:7], v[0:1]
	v_mul_f64 v[4:5], v[103:104], v[2:3]
	ds_read_b64 v[6:7], v255 offset:768
	v_mul_f64 v[4:5], v[105:106], v[4:5]
	;; [unrolled: 5-line block ×3, first 2 shown]
	s_waitcnt lgkmcnt(0)
	v_fma_f64 v[0:1], v[4:5], v[6:7], v[0:1]
	v_mul_f64 v[4:5], v[87:88], v[2:3]
	v_mul_f64 v[2:3], v[79:80], v[2:3]
	ds_read_b64 v[6:7], v255 offset:784
	v_mul_f64 v[4:5], v[91:92], v[4:5]
	v_mul_f64 v[2:3], v[83:84], v[2:3]
	s_waitcnt lgkmcnt(0)
	v_fma_f64 v[0:1], v[4:5], v[6:7], v[0:1]
	ds_read_b64 v[4:5], v255 offset:792
	s_waitcnt lgkmcnt(0)
	v_fma_f64 v[0:1], v[2:3], v[4:5], v[0:1]
	ds_read_b64 v[2:3], v36 offset:128
	ds_read_b64 v[4:5], v136 offset:128
	;; [unrolled: 1-line block ×3, first 2 shown]
	s_waitcnt lgkmcnt(1)
	v_mul_f64 v[2:3], v[2:3], v[4:5]
	v_mul_f64 v[4:5], v[127:128], v[2:3]
	v_mul_f64 v[4:5], v[209:210], v[4:5]
	v_mul_f64 v[6:7], v[107:108], v[4:5]
	v_mul_f64 v[6:7], v[209:210], v[6:7]
	s_waitcnt lgkmcnt(0)
	v_fma_f64 v[0:1], v[8:9], v[6:7], v[0:1]
	v_mul_f64 v[6:7], v[103:104], v[4:5]
	ds_read_b64 v[8:9], v255 offset:808
	v_mul_f64 v[6:7], v[105:106], v[6:7]
	s_waitcnt lgkmcnt(0)
	v_fma_f64 v[0:1], v[8:9], v[6:7], v[0:1]
	v_mul_f64 v[6:7], v[95:96], v[4:5]
	ds_read_b64 v[8:9], v255 offset:816
	v_mul_f64 v[6:7], v[97:98], v[6:7]
	s_waitcnt lgkmcnt(0)
	v_fma_f64 v[0:1], v[8:9], v[6:7], v[0:1]
	v_mul_f64 v[6:7], v[87:88], v[4:5]
	v_mul_f64 v[4:5], v[79:80], v[4:5]
	ds_read_b64 v[8:9], v255 offset:824
	v_mul_f64 v[6:7], v[91:92], v[6:7]
	v_mul_f64 v[4:5], v[83:84], v[4:5]
	s_waitcnt lgkmcnt(0)
	v_fma_f64 v[0:1], v[8:9], v[6:7], v[0:1]
	ds_read_b64 v[6:7], v255 offset:832
	ds_read_b64 v[8:9], v255 offset:840
	s_waitcnt lgkmcnt(1)
	v_fma_f64 v[0:1], v[4:5], v[6:7], v[0:1]
	v_mul_f64 v[4:5], v[115:116], v[2:3]
	v_mul_f64 v[4:5], v[105:106], v[4:5]
	v_mul_f64 v[6:7], v[107:108], v[4:5]
	v_mul_f64 v[6:7], v[209:210], v[6:7]
	s_waitcnt lgkmcnt(0)
	v_fma_f64 v[0:1], v[6:7], v[8:9], v[0:1]
	v_mul_f64 v[6:7], v[103:104], v[4:5]
	ds_read_b64 v[8:9], v255 offset:848
	v_mul_f64 v[6:7], v[105:106], v[6:7]
	s_waitcnt lgkmcnt(0)
	v_fma_f64 v[0:1], v[6:7], v[8:9], v[0:1]
	v_mul_f64 v[6:7], v[95:96], v[4:5]
	ds_read_b64 v[8:9], v255 offset:856
	v_mul_f64 v[6:7], v[97:98], v[6:7]
	s_waitcnt lgkmcnt(0)
	v_fma_f64 v[0:1], v[6:7], v[8:9], v[0:1]
	v_mul_f64 v[6:7], v[87:88], v[4:5]
	v_mul_f64 v[4:5], v[79:80], v[4:5]
	ds_read_b64 v[8:9], v255 offset:864
	v_mul_f64 v[6:7], v[91:92], v[6:7]
	v_mul_f64 v[4:5], v[83:84], v[4:5]
	s_waitcnt lgkmcnt(0)
	v_fma_f64 v[0:1], v[6:7], v[8:9], v[0:1]
	ds_read_b64 v[6:7], v255 offset:872
	ds_read_b64 v[8:9], v255 offset:880
	s_waitcnt lgkmcnt(1)
	v_fma_f64 v[0:1], v[4:5], v[6:7], v[0:1]
	v_mul_f64 v[4:5], v[113:114], v[2:3]
	v_mul_f64 v[4:5], v[97:98], v[4:5]
	v_mul_f64 v[6:7], v[107:108], v[4:5]
	v_mul_f64 v[6:7], v[209:210], v[6:7]
	;; [unrolled: 27-line block ×3, first 2 shown]
	v_mul_f64 v[6:7], v[107:108], v[4:5]
	v_mul_f64 v[6:7], v[209:210], v[6:7]
	s_waitcnt lgkmcnt(0)
	v_fma_f64 v[0:1], v[6:7], v[8:9], v[0:1]
	v_mul_f64 v[6:7], v[103:104], v[4:5]
	ds_read_b64 v[8:9], v255 offset:928
	v_mul_f64 v[6:7], v[105:106], v[6:7]
	s_waitcnt lgkmcnt(0)
	v_fma_f64 v[0:1], v[6:7], v[8:9], v[0:1]
	v_mul_f64 v[6:7], v[95:96], v[4:5]
	ds_read_b64 v[8:9], v255 offset:936
	v_mul_f64 v[6:7], v[97:98], v[6:7]
	s_waitcnt lgkmcnt(0)
	v_fma_f64 v[0:1], v[6:7], v[8:9], v[0:1]
	v_mul_f64 v[6:7], v[87:88], v[4:5]
	v_mul_f64 v[4:5], v[79:80], v[4:5]
	ds_read_b64 v[8:9], v255 offset:944
	v_mul_f64 v[6:7], v[91:92], v[6:7]
	v_mul_f64 v[4:5], v[83:84], v[4:5]
	s_waitcnt lgkmcnt(0)
	v_fma_f64 v[0:1], v[6:7], v[8:9], v[0:1]
	ds_read_b64 v[6:7], v255 offset:952
	s_waitcnt lgkmcnt(0)
	v_fma_f64 v[0:1], v[4:5], v[6:7], v[0:1]
	v_mul_f64 v[4:5], v[107:108], v[2:3]
	ds_read_b64 v[6:7], v255 offset:960
	v_mul_f64 v[4:5], v[209:210], v[4:5]
	s_waitcnt lgkmcnt(0)
	v_fma_f64 v[0:1], v[4:5], v[6:7], v[0:1]
	v_mul_f64 v[4:5], v[103:104], v[2:3]
	ds_read_b64 v[6:7], v255 offset:968
	v_mul_f64 v[4:5], v[105:106], v[4:5]
	s_waitcnt lgkmcnt(0)
	v_fma_f64 v[0:1], v[4:5], v[6:7], v[0:1]
	v_mul_f64 v[4:5], v[95:96], v[2:3]
	ds_read_b64 v[6:7], v255 offset:976
	v_mul_f64 v[4:5], v[97:98], v[4:5]
	s_waitcnt lgkmcnt(0)
	v_fma_f64 v[0:1], v[4:5], v[6:7], v[0:1]
	v_mul_f64 v[4:5], v[87:88], v[2:3]
	v_mul_f64 v[2:3], v[79:80], v[2:3]
	ds_read_b64 v[6:7], v255 offset:984
	v_mul_f64 v[4:5], v[91:92], v[4:5]
	v_mul_f64 v[2:3], v[83:84], v[2:3]
	s_waitcnt lgkmcnt(0)
	v_fma_f64 v[0:1], v[4:5], v[6:7], v[0:1]
	ds_read_b64 v[4:5], v255 offset:992
	s_waitcnt lgkmcnt(0)
	v_fma_f64 v[0:1], v[2:3], v[4:5], v[0:1]
	buffer_load_dword v2, off, s[24:27], s10 ; 4-byte Folded Reload
	buffer_load_dword v3, off, s[24:27], s10 offset:4 ; 4-byte Folded Reload
	s_mov_b32 s10, 0x42c00
	s_waitcnt vmcnt(0)
	global_store_dwordx2 v[2:3], v[0:1], off offset:2048
	ds_read2_b64 v[241:244], v255 offset0:127 offset1:128
	ds_read_b64 v[43:44], v131
	ds_read_b64 v[39:40], v131 offset:32
	ds_read2_b64 v[227:230], v255 offset0:131 offset1:132
	ds_read_b64 v[25:26], v131 offset:64
	ds_read2_b64 v[237:240], v255 offset0:135 offset1:136
	;; [unrolled: 2-line block ×4, first 2 shown]
	ds_read_b64 v[87:88], v255 offset:1016
	ds_read_b64 v[91:92], v132
	ds_read_b64 v[79:80], v132 offset:32
	ds_read_b64 v[83:84], v255 offset:1048
	;; [unrolled: 1-line block ×8, first 2 shown]
	ds_read_b64 v[0:1], v36
	ds_read_b64 v[2:3], v36 offset:32
	ds_read_b64 v[4:5], v136
	ds_read_b64 v[6:7], v136 offset:32
	;; [unrolled: 2-line block ×3, first 2 shown]
	ds_read_b64 v[31:32], v255 offset:16
	ds_read_b64 v[33:34], v255 offset:24
	;; [unrolled: 1-line block ×6, first 2 shown]
	s_waitcnt lgkmcnt(9)
	v_mul_f64 v[0:1], v[0:1], v[4:5]
	s_waitcnt lgkmcnt(8)
	v_mul_f64 v[2:3], v[2:3], v[6:7]
	v_mul_f64 v[4:5], v[91:92], v[0:1]
	;; [unrolled: 1-line block ×5, first 2 shown]
	s_waitcnt lgkmcnt(7)
	v_fma_f64 v[8:9], v[27:28], v[8:9], 0
	v_mul_f64 v[27:28], v[39:40], v[4:5]
	v_mul_f64 v[27:28], v[229:230], v[27:28]
	s_waitcnt lgkmcnt(6)
	v_fma_f64 v[8:9], v[29:30], v[27:28], v[8:9]
	v_mul_f64 v[27:28], v[25:26], v[4:5]
	ds_read_b64 v[29:30], v255 offset:64
	v_mul_f64 v[27:28], v[239:240], v[27:28]
	s_waitcnt lgkmcnt(6)
	v_fma_f64 v[8:9], v[31:32], v[27:28], v[8:9]
	v_mul_f64 v[27:28], v[19:20], v[4:5]
	v_mul_f64 v[4:5], v[15:16], v[4:5]
	v_mul_f64 v[27:28], v[235:236], v[27:28]
	v_mul_f64 v[4:5], v[127:128], v[4:5]
	s_waitcnt lgkmcnt(5)
	v_fma_f64 v[8:9], v[33:34], v[27:28], v[8:9]
	s_waitcnt lgkmcnt(4)
	v_fma_f64 v[4:5], v[4:5], v[73:74], v[8:9]
	v_mul_f64 v[8:9], v[79:80], v[0:1]
	v_mul_f64 v[8:9], v[83:84], v[8:9]
	v_mul_f64 v[27:28], v[43:44], v[8:9]
	v_mul_f64 v[27:28], v[243:244], v[27:28]
	s_waitcnt lgkmcnt(3)
	v_fma_f64 v[4:5], v[27:28], v[75:76], v[4:5]
	v_mul_f64 v[27:28], v[39:40], v[8:9]
	v_mul_f64 v[27:28], v[229:230], v[27:28]
	s_waitcnt lgkmcnt(2)
	v_fma_f64 v[4:5], v[27:28], v[95:96], v[4:5]
	v_mul_f64 v[27:28], v[25:26], v[8:9]
	v_mul_f64 v[27:28], v[239:240], v[27:28]
	;; [unrolled: 4-line block ×3, first 2 shown]
	v_mul_f64 v[27:28], v[235:236], v[27:28]
	v_mul_f64 v[8:9], v[127:128], v[8:9]
	s_waitcnt lgkmcnt(0)
	v_fma_f64 v[4:5], v[27:28], v[29:30], v[4:5]
	ds_read_b64 v[27:28], v255 offset:72
	ds_read_b64 v[29:30], v255 offset:80
	s_waitcnt lgkmcnt(1)
	v_fma_f64 v[4:5], v[8:9], v[27:28], v[4:5]
	v_mul_f64 v[8:9], v[65:66], v[0:1]
	v_mul_f64 v[8:9], v[71:72], v[8:9]
	;; [unrolled: 1-line block ×4, first 2 shown]
	s_waitcnt lgkmcnt(0)
	v_fma_f64 v[4:5], v[27:28], v[29:30], v[4:5]
	v_mul_f64 v[27:28], v[39:40], v[8:9]
	ds_read_b64 v[29:30], v255 offset:88
	v_mul_f64 v[27:28], v[229:230], v[27:28]
	s_waitcnt lgkmcnt(0)
	v_fma_f64 v[4:5], v[27:28], v[29:30], v[4:5]
	v_mul_f64 v[27:28], v[25:26], v[8:9]
	ds_read_b64 v[29:30], v255 offset:96
	v_mul_f64 v[27:28], v[239:240], v[27:28]
	s_waitcnt lgkmcnt(0)
	v_fma_f64 v[4:5], v[27:28], v[29:30], v[4:5]
	v_mul_f64 v[27:28], v[19:20], v[8:9]
	v_mul_f64 v[8:9], v[15:16], v[8:9]
	ds_read_b64 v[29:30], v255 offset:104
	v_mul_f64 v[27:28], v[235:236], v[27:28]
	v_mul_f64 v[8:9], v[127:128], v[8:9]
	s_waitcnt lgkmcnt(0)
	v_fma_f64 v[4:5], v[27:28], v[29:30], v[4:5]
	ds_read_b64 v[27:28], v255 offset:112
	ds_read_b64 v[29:30], v255 offset:120
	s_waitcnt lgkmcnt(1)
	v_fma_f64 v[4:5], v[8:9], v[27:28], v[4:5]
	v_mul_f64 v[8:9], v[57:58], v[0:1]
	v_mul_f64 v[0:1], v[47:48], v[0:1]
	;; [unrolled: 1-line block ×6, first 2 shown]
	s_waitcnt lgkmcnt(0)
	v_fma_f64 v[4:5], v[27:28], v[29:30], v[4:5]
	v_mul_f64 v[27:28], v[39:40], v[8:9]
	ds_read_b64 v[29:30], v255 offset:128
	v_mul_f64 v[27:28], v[229:230], v[27:28]
	s_waitcnt lgkmcnt(0)
	v_fma_f64 v[4:5], v[27:28], v[29:30], v[4:5]
	v_mul_f64 v[27:28], v[25:26], v[8:9]
	ds_read_b64 v[29:30], v255 offset:136
	v_mul_f64 v[27:28], v[239:240], v[27:28]
	s_waitcnt lgkmcnt(0)
	v_fma_f64 v[4:5], v[27:28], v[29:30], v[4:5]
	v_mul_f64 v[27:28], v[19:20], v[8:9]
	v_mul_f64 v[8:9], v[15:16], v[8:9]
	ds_read_b64 v[29:30], v255 offset:144
	v_mul_f64 v[27:28], v[235:236], v[27:28]
	v_mul_f64 v[8:9], v[127:128], v[8:9]
	s_waitcnt lgkmcnt(0)
	v_fma_f64 v[4:5], v[27:28], v[29:30], v[4:5]
	ds_read_b64 v[27:28], v255 offset:152
	s_waitcnt lgkmcnt(0)
	v_fma_f64 v[4:5], v[8:9], v[27:28], v[4:5]
	v_mul_f64 v[8:9], v[43:44], v[0:1]
	ds_read_b64 v[27:28], v255 offset:160
	v_mul_f64 v[8:9], v[243:244], v[8:9]
	s_waitcnt lgkmcnt(0)
	v_fma_f64 v[4:5], v[8:9], v[27:28], v[4:5]
	v_mul_f64 v[8:9], v[39:40], v[0:1]
	ds_read_b64 v[27:28], v255 offset:168
	v_mul_f64 v[8:9], v[229:230], v[8:9]
	;; [unrolled: 5-line block ×3, first 2 shown]
	s_waitcnt lgkmcnt(0)
	v_fma_f64 v[4:5], v[8:9], v[27:28], v[4:5]
	v_mul_f64 v[8:9], v[19:20], v[0:1]
	v_mul_f64 v[0:1], v[15:16], v[0:1]
	ds_read_b64 v[27:28], v255 offset:184
	v_mul_f64 v[8:9], v[235:236], v[8:9]
	v_mul_f64 v[0:1], v[127:128], v[0:1]
	s_waitcnt lgkmcnt(0)
	v_fma_f64 v[4:5], v[8:9], v[27:28], v[4:5]
	ds_read_b64 v[8:9], v255 offset:192
	s_waitcnt lgkmcnt(0)
	v_fma_f64 v[0:1], v[0:1], v[8:9], v[4:5]
	v_mul_f64 v[4:5], v[91:92], v[2:3]
	ds_read_b64 v[8:9], v255 offset:200
	v_mul_f64 v[4:5], v[87:88], v[4:5]
	v_mul_f64 v[6:7], v[43:44], v[4:5]
	v_mul_f64 v[6:7], v[243:244], v[6:7]
	s_waitcnt lgkmcnt(0)
	v_fma_f64 v[0:1], v[8:9], v[6:7], v[0:1]
	v_mul_f64 v[6:7], v[39:40], v[4:5]
	ds_read_b64 v[8:9], v255 offset:208
	v_mul_f64 v[6:7], v[229:230], v[6:7]
	s_waitcnt lgkmcnt(0)
	v_fma_f64 v[0:1], v[8:9], v[6:7], v[0:1]
	v_mul_f64 v[6:7], v[25:26], v[4:5]
	ds_read_b64 v[8:9], v255 offset:216
	v_mul_f64 v[6:7], v[239:240], v[6:7]
	s_waitcnt lgkmcnt(0)
	v_fma_f64 v[0:1], v[8:9], v[6:7], v[0:1]
	v_mul_f64 v[6:7], v[19:20], v[4:5]
	v_mul_f64 v[4:5], v[15:16], v[4:5]
	ds_read_b64 v[8:9], v255 offset:224
	v_mul_f64 v[6:7], v[235:236], v[6:7]
	v_mul_f64 v[4:5], v[127:128], v[4:5]
	s_waitcnt lgkmcnt(0)
	v_fma_f64 v[0:1], v[8:9], v[6:7], v[0:1]
	ds_read_b64 v[6:7], v255 offset:232
	ds_read_b64 v[8:9], v255 offset:240
	s_waitcnt lgkmcnt(1)
	v_fma_f64 v[0:1], v[4:5], v[6:7], v[0:1]
	v_mul_f64 v[4:5], v[79:80], v[2:3]
	v_mul_f64 v[4:5], v[83:84], v[4:5]
	v_mul_f64 v[6:7], v[43:44], v[4:5]
	v_mul_f64 v[6:7], v[243:244], v[6:7]
	s_waitcnt lgkmcnt(0)
	v_fma_f64 v[0:1], v[6:7], v[8:9], v[0:1]
	v_mul_f64 v[6:7], v[39:40], v[4:5]
	ds_read_b64 v[8:9], v255 offset:248
	v_mul_f64 v[6:7], v[229:230], v[6:7]
	s_waitcnt lgkmcnt(0)
	v_fma_f64 v[0:1], v[6:7], v[8:9], v[0:1]
	v_mul_f64 v[6:7], v[25:26], v[4:5]
	ds_read_b64 v[8:9], v255 offset:256
	v_mul_f64 v[6:7], v[239:240], v[6:7]
	s_waitcnt lgkmcnt(0)
	v_fma_f64 v[0:1], v[6:7], v[8:9], v[0:1]
	v_mul_f64 v[6:7], v[19:20], v[4:5]
	v_mul_f64 v[4:5], v[15:16], v[4:5]
	ds_read_b64 v[8:9], v255 offset:264
	v_mul_f64 v[6:7], v[235:236], v[6:7]
	v_mul_f64 v[4:5], v[127:128], v[4:5]
	s_waitcnt lgkmcnt(0)
	v_fma_f64 v[0:1], v[6:7], v[8:9], v[0:1]
	ds_read_b64 v[6:7], v255 offset:272
	ds_read_b64 v[8:9], v255 offset:280
	s_waitcnt lgkmcnt(1)
	v_fma_f64 v[0:1], v[4:5], v[6:7], v[0:1]
	v_mul_f64 v[4:5], v[65:66], v[2:3]
	;; [unrolled: 27-line block ×3, first 2 shown]
	v_mul_f64 v[2:3], v[47:48], v[2:3]
	v_mul_f64 v[4:5], v[61:62], v[4:5]
	v_mul_f64 v[2:3], v[53:54], v[2:3]
	v_mul_f64 v[6:7], v[43:44], v[4:5]
	v_mul_f64 v[6:7], v[243:244], v[6:7]
	s_waitcnt lgkmcnt(0)
	v_fma_f64 v[0:1], v[6:7], v[8:9], v[0:1]
	v_mul_f64 v[6:7], v[39:40], v[4:5]
	ds_read_b64 v[8:9], v255 offset:328
	v_mul_f64 v[6:7], v[229:230], v[6:7]
	s_waitcnt lgkmcnt(0)
	v_fma_f64 v[0:1], v[6:7], v[8:9], v[0:1]
	v_mul_f64 v[6:7], v[25:26], v[4:5]
	ds_read_b64 v[8:9], v255 offset:336
	v_mul_f64 v[6:7], v[239:240], v[6:7]
	s_waitcnt lgkmcnt(0)
	v_fma_f64 v[0:1], v[6:7], v[8:9], v[0:1]
	v_mul_f64 v[6:7], v[19:20], v[4:5]
	v_mul_f64 v[4:5], v[15:16], v[4:5]
	ds_read_b64 v[8:9], v255 offset:344
	v_mul_f64 v[6:7], v[235:236], v[6:7]
	v_mul_f64 v[4:5], v[127:128], v[4:5]
	s_waitcnt lgkmcnt(0)
	v_fma_f64 v[0:1], v[6:7], v[8:9], v[0:1]
	ds_read_b64 v[6:7], v255 offset:352
	s_waitcnt lgkmcnt(0)
	v_fma_f64 v[0:1], v[4:5], v[6:7], v[0:1]
	v_mul_f64 v[4:5], v[43:44], v[2:3]
	ds_read_b64 v[6:7], v255 offset:360
	v_mul_f64 v[4:5], v[243:244], v[4:5]
	s_waitcnt lgkmcnt(0)
	v_fma_f64 v[0:1], v[4:5], v[6:7], v[0:1]
	v_mul_f64 v[4:5], v[39:40], v[2:3]
	ds_read_b64 v[6:7], v255 offset:368
	v_mul_f64 v[4:5], v[229:230], v[4:5]
	;; [unrolled: 5-line block ×3, first 2 shown]
	s_waitcnt lgkmcnt(0)
	v_fma_f64 v[0:1], v[4:5], v[6:7], v[0:1]
	v_mul_f64 v[4:5], v[19:20], v[2:3]
	v_mul_f64 v[2:3], v[15:16], v[2:3]
	ds_read_b64 v[6:7], v255 offset:384
	v_mul_f64 v[4:5], v[235:236], v[4:5]
	v_mul_f64 v[2:3], v[127:128], v[2:3]
	s_waitcnt lgkmcnt(0)
	v_fma_f64 v[0:1], v[4:5], v[6:7], v[0:1]
	ds_read_b64 v[4:5], v255 offset:392
	s_waitcnt lgkmcnt(0)
	v_fma_f64 v[0:1], v[2:3], v[4:5], v[0:1]
	ds_read_b64 v[2:3], v36 offset:64
	ds_read_b64 v[4:5], v136 offset:64
	;; [unrolled: 1-line block ×3, first 2 shown]
	s_waitcnt lgkmcnt(1)
	v_mul_f64 v[2:3], v[2:3], v[4:5]
	v_mul_f64 v[4:5], v[91:92], v[2:3]
	;; [unrolled: 1-line block ×5, first 2 shown]
	s_waitcnt lgkmcnt(0)
	v_fma_f64 v[0:1], v[8:9], v[6:7], v[0:1]
	v_mul_f64 v[6:7], v[39:40], v[4:5]
	ds_read_b64 v[8:9], v255 offset:408
	v_mul_f64 v[6:7], v[229:230], v[6:7]
	s_waitcnt lgkmcnt(0)
	v_fma_f64 v[0:1], v[8:9], v[6:7], v[0:1]
	v_mul_f64 v[6:7], v[25:26], v[4:5]
	ds_read_b64 v[8:9], v255 offset:416
	v_mul_f64 v[6:7], v[239:240], v[6:7]
	s_waitcnt lgkmcnt(0)
	v_fma_f64 v[0:1], v[8:9], v[6:7], v[0:1]
	v_mul_f64 v[6:7], v[19:20], v[4:5]
	v_mul_f64 v[4:5], v[15:16], v[4:5]
	ds_read_b64 v[8:9], v255 offset:424
	v_mul_f64 v[6:7], v[235:236], v[6:7]
	v_mul_f64 v[4:5], v[127:128], v[4:5]
	s_waitcnt lgkmcnt(0)
	v_fma_f64 v[0:1], v[8:9], v[6:7], v[0:1]
	ds_read_b64 v[6:7], v255 offset:432
	ds_read_b64 v[8:9], v255 offset:440
	s_waitcnt lgkmcnt(1)
	v_fma_f64 v[0:1], v[4:5], v[6:7], v[0:1]
	v_mul_f64 v[4:5], v[79:80], v[2:3]
	v_mul_f64 v[4:5], v[83:84], v[4:5]
	v_mul_f64 v[6:7], v[43:44], v[4:5]
	v_mul_f64 v[6:7], v[243:244], v[6:7]
	s_waitcnt lgkmcnt(0)
	v_fma_f64 v[0:1], v[6:7], v[8:9], v[0:1]
	v_mul_f64 v[6:7], v[39:40], v[4:5]
	ds_read_b64 v[8:9], v255 offset:448
	v_mul_f64 v[6:7], v[229:230], v[6:7]
	s_waitcnt lgkmcnt(0)
	v_fma_f64 v[0:1], v[6:7], v[8:9], v[0:1]
	v_mul_f64 v[6:7], v[25:26], v[4:5]
	ds_read_b64 v[8:9], v255 offset:456
	v_mul_f64 v[6:7], v[239:240], v[6:7]
	s_waitcnt lgkmcnt(0)
	v_fma_f64 v[0:1], v[6:7], v[8:9], v[0:1]
	v_mul_f64 v[6:7], v[19:20], v[4:5]
	v_mul_f64 v[4:5], v[15:16], v[4:5]
	ds_read_b64 v[8:9], v255 offset:464
	v_mul_f64 v[6:7], v[235:236], v[6:7]
	v_mul_f64 v[4:5], v[127:128], v[4:5]
	s_waitcnt lgkmcnt(0)
	v_fma_f64 v[0:1], v[6:7], v[8:9], v[0:1]
	ds_read_b64 v[6:7], v255 offset:472
	ds_read_b64 v[8:9], v255 offset:480
	s_waitcnt lgkmcnt(1)
	v_fma_f64 v[0:1], v[4:5], v[6:7], v[0:1]
	v_mul_f64 v[4:5], v[65:66], v[2:3]
	v_mul_f64 v[4:5], v[71:72], v[4:5]
	v_mul_f64 v[6:7], v[43:44], v[4:5]
	v_mul_f64 v[6:7], v[243:244], v[6:7]
	;; [unrolled: 27-line block ×3, first 2 shown]
	v_mul_f64 v[6:7], v[43:44], v[4:5]
	v_mul_f64 v[6:7], v[243:244], v[6:7]
	s_waitcnt lgkmcnt(0)
	v_fma_f64 v[0:1], v[6:7], v[8:9], v[0:1]
	v_mul_f64 v[6:7], v[39:40], v[4:5]
	ds_read_b64 v[8:9], v255 offset:528
	v_mul_f64 v[6:7], v[229:230], v[6:7]
	s_waitcnt lgkmcnt(0)
	v_fma_f64 v[0:1], v[6:7], v[8:9], v[0:1]
	v_mul_f64 v[6:7], v[25:26], v[4:5]
	ds_read_b64 v[8:9], v255 offset:536
	v_mul_f64 v[6:7], v[239:240], v[6:7]
	s_waitcnt lgkmcnt(0)
	v_fma_f64 v[0:1], v[6:7], v[8:9], v[0:1]
	v_mul_f64 v[6:7], v[19:20], v[4:5]
	v_mul_f64 v[4:5], v[15:16], v[4:5]
	ds_read_b64 v[8:9], v255 offset:544
	v_mul_f64 v[6:7], v[235:236], v[6:7]
	v_mul_f64 v[4:5], v[127:128], v[4:5]
	s_waitcnt lgkmcnt(0)
	v_fma_f64 v[0:1], v[6:7], v[8:9], v[0:1]
	ds_read_b64 v[6:7], v255 offset:552
	s_waitcnt lgkmcnt(0)
	v_fma_f64 v[0:1], v[4:5], v[6:7], v[0:1]
	v_mul_f64 v[4:5], v[43:44], v[2:3]
	ds_read_b64 v[6:7], v255 offset:560
	v_mul_f64 v[4:5], v[243:244], v[4:5]
	s_waitcnt lgkmcnt(0)
	v_fma_f64 v[0:1], v[4:5], v[6:7], v[0:1]
	v_mul_f64 v[4:5], v[39:40], v[2:3]
	ds_read_b64 v[6:7], v255 offset:568
	v_mul_f64 v[4:5], v[229:230], v[4:5]
	;; [unrolled: 5-line block ×3, first 2 shown]
	s_waitcnt lgkmcnt(0)
	v_fma_f64 v[0:1], v[4:5], v[6:7], v[0:1]
	v_mul_f64 v[4:5], v[19:20], v[2:3]
	v_mul_f64 v[2:3], v[15:16], v[2:3]
	ds_read_b64 v[6:7], v255 offset:584
	v_mul_f64 v[4:5], v[235:236], v[4:5]
	v_mul_f64 v[2:3], v[127:128], v[2:3]
	s_waitcnt lgkmcnt(0)
	v_fma_f64 v[0:1], v[4:5], v[6:7], v[0:1]
	ds_read_b64 v[4:5], v255 offset:592
	s_waitcnt lgkmcnt(0)
	v_fma_f64 v[0:1], v[2:3], v[4:5], v[0:1]
	ds_read_b64 v[2:3], v36 offset:96
	ds_read_b64 v[4:5], v136 offset:96
	;; [unrolled: 1-line block ×3, first 2 shown]
	s_waitcnt lgkmcnt(1)
	v_mul_f64 v[2:3], v[2:3], v[4:5]
	v_mul_f64 v[4:5], v[91:92], v[2:3]
	;; [unrolled: 1-line block ×5, first 2 shown]
	s_waitcnt lgkmcnt(0)
	v_fma_f64 v[0:1], v[8:9], v[6:7], v[0:1]
	v_mul_f64 v[6:7], v[39:40], v[4:5]
	ds_read_b64 v[8:9], v255 offset:608
	v_mul_f64 v[6:7], v[229:230], v[6:7]
	s_waitcnt lgkmcnt(0)
	v_fma_f64 v[0:1], v[8:9], v[6:7], v[0:1]
	v_mul_f64 v[6:7], v[25:26], v[4:5]
	ds_read_b64 v[8:9], v255 offset:616
	v_mul_f64 v[6:7], v[239:240], v[6:7]
	s_waitcnt lgkmcnt(0)
	v_fma_f64 v[0:1], v[8:9], v[6:7], v[0:1]
	v_mul_f64 v[6:7], v[19:20], v[4:5]
	v_mul_f64 v[4:5], v[15:16], v[4:5]
	ds_read_b64 v[8:9], v255 offset:624
	v_mul_f64 v[6:7], v[235:236], v[6:7]
	v_mul_f64 v[4:5], v[127:128], v[4:5]
	s_waitcnt lgkmcnt(0)
	v_fma_f64 v[0:1], v[8:9], v[6:7], v[0:1]
	ds_read_b64 v[6:7], v255 offset:632
	ds_read_b64 v[8:9], v255 offset:640
	s_waitcnt lgkmcnt(1)
	v_fma_f64 v[0:1], v[4:5], v[6:7], v[0:1]
	v_mul_f64 v[4:5], v[79:80], v[2:3]
	v_mul_f64 v[4:5], v[83:84], v[4:5]
	v_mul_f64 v[6:7], v[43:44], v[4:5]
	v_mul_f64 v[6:7], v[243:244], v[6:7]
	s_waitcnt lgkmcnt(0)
	v_fma_f64 v[0:1], v[6:7], v[8:9], v[0:1]
	v_mul_f64 v[6:7], v[39:40], v[4:5]
	ds_read_b64 v[8:9], v255 offset:648
	v_mul_f64 v[6:7], v[229:230], v[6:7]
	s_waitcnt lgkmcnt(0)
	v_fma_f64 v[0:1], v[6:7], v[8:9], v[0:1]
	v_mul_f64 v[6:7], v[25:26], v[4:5]
	ds_read_b64 v[8:9], v255 offset:656
	v_mul_f64 v[6:7], v[239:240], v[6:7]
	s_waitcnt lgkmcnt(0)
	v_fma_f64 v[0:1], v[6:7], v[8:9], v[0:1]
	v_mul_f64 v[6:7], v[19:20], v[4:5]
	v_mul_f64 v[4:5], v[15:16], v[4:5]
	ds_read_b64 v[8:9], v255 offset:664
	v_mul_f64 v[6:7], v[235:236], v[6:7]
	v_mul_f64 v[4:5], v[127:128], v[4:5]
	s_waitcnt lgkmcnt(0)
	v_fma_f64 v[0:1], v[6:7], v[8:9], v[0:1]
	ds_read_b64 v[6:7], v255 offset:672
	ds_read_b64 v[8:9], v255 offset:680
	s_waitcnt lgkmcnt(1)
	v_fma_f64 v[0:1], v[4:5], v[6:7], v[0:1]
	v_mul_f64 v[4:5], v[65:66], v[2:3]
	v_mul_f64 v[4:5], v[71:72], v[4:5]
	v_mul_f64 v[6:7], v[43:44], v[4:5]
	v_mul_f64 v[6:7], v[243:244], v[6:7]
	;; [unrolled: 27-line block ×3, first 2 shown]
	v_mul_f64 v[6:7], v[43:44], v[4:5]
	v_mul_f64 v[6:7], v[243:244], v[6:7]
	s_waitcnt lgkmcnt(0)
	v_fma_f64 v[0:1], v[6:7], v[8:9], v[0:1]
	v_mul_f64 v[6:7], v[39:40], v[4:5]
	ds_read_b64 v[8:9], v255 offset:728
	v_mul_f64 v[6:7], v[229:230], v[6:7]
	s_waitcnt lgkmcnt(0)
	v_fma_f64 v[0:1], v[6:7], v[8:9], v[0:1]
	v_mul_f64 v[6:7], v[25:26], v[4:5]
	ds_read_b64 v[8:9], v255 offset:736
	v_mul_f64 v[6:7], v[239:240], v[6:7]
	s_waitcnt lgkmcnt(0)
	v_fma_f64 v[0:1], v[6:7], v[8:9], v[0:1]
	v_mul_f64 v[6:7], v[19:20], v[4:5]
	v_mul_f64 v[4:5], v[15:16], v[4:5]
	ds_read_b64 v[8:9], v255 offset:744
	v_mul_f64 v[6:7], v[235:236], v[6:7]
	v_mul_f64 v[4:5], v[127:128], v[4:5]
	s_waitcnt lgkmcnt(0)
	v_fma_f64 v[0:1], v[6:7], v[8:9], v[0:1]
	ds_read_b64 v[6:7], v255 offset:752
	s_waitcnt lgkmcnt(0)
	v_fma_f64 v[0:1], v[4:5], v[6:7], v[0:1]
	v_mul_f64 v[4:5], v[43:44], v[2:3]
	ds_read_b64 v[6:7], v255 offset:760
	v_mul_f64 v[4:5], v[243:244], v[4:5]
	s_waitcnt lgkmcnt(0)
	v_fma_f64 v[0:1], v[4:5], v[6:7], v[0:1]
	v_mul_f64 v[4:5], v[39:40], v[2:3]
	ds_read_b64 v[6:7], v255 offset:768
	v_mul_f64 v[4:5], v[229:230], v[4:5]
	s_waitcnt lgkmcnt(0)
	v_fma_f64 v[0:1], v[4:5], v[6:7], v[0:1]
	v_mul_f64 v[4:5], v[25:26], v[2:3]
	ds_read_b64 v[6:7], v255 offset:776
	v_mul_f64 v[4:5], v[239:240], v[4:5]
	s_waitcnt lgkmcnt(0)
	v_fma_f64 v[0:1], v[4:5], v[6:7], v[0:1]
	v_mul_f64 v[4:5], v[19:20], v[2:3]
	v_mul_f64 v[2:3], v[15:16], v[2:3]
	ds_read_b64 v[6:7], v255 offset:784
	v_mul_f64 v[4:5], v[235:236], v[4:5]
	v_mul_f64 v[2:3], v[127:128], v[2:3]
	s_waitcnt lgkmcnt(0)
	v_fma_f64 v[0:1], v[4:5], v[6:7], v[0:1]
	ds_read_b64 v[4:5], v255 offset:792
	s_waitcnt lgkmcnt(0)
	v_fma_f64 v[0:1], v[2:3], v[4:5], v[0:1]
	ds_read_b64 v[2:3], v36 offset:128
	ds_read_b64 v[4:5], v136 offset:128
	;; [unrolled: 1-line block ×3, first 2 shown]
	s_waitcnt lgkmcnt(1)
	v_mul_f64 v[2:3], v[2:3], v[4:5]
	v_mul_f64 v[4:5], v[91:92], v[2:3]
	;; [unrolled: 1-line block ×5, first 2 shown]
	s_waitcnt lgkmcnt(0)
	v_fma_f64 v[0:1], v[8:9], v[6:7], v[0:1]
	v_mul_f64 v[6:7], v[39:40], v[4:5]
	ds_read_b64 v[8:9], v255 offset:808
	v_mul_f64 v[6:7], v[229:230], v[6:7]
	s_waitcnt lgkmcnt(0)
	v_fma_f64 v[0:1], v[8:9], v[6:7], v[0:1]
	v_mul_f64 v[6:7], v[25:26], v[4:5]
	ds_read_b64 v[8:9], v255 offset:816
	v_mul_f64 v[6:7], v[239:240], v[6:7]
	s_waitcnt lgkmcnt(0)
	v_fma_f64 v[0:1], v[8:9], v[6:7], v[0:1]
	v_mul_f64 v[6:7], v[19:20], v[4:5]
	v_mul_f64 v[4:5], v[15:16], v[4:5]
	ds_read_b64 v[8:9], v255 offset:824
	v_mul_f64 v[6:7], v[235:236], v[6:7]
	v_mul_f64 v[4:5], v[127:128], v[4:5]
	s_waitcnt lgkmcnt(0)
	v_fma_f64 v[0:1], v[8:9], v[6:7], v[0:1]
	ds_read_b64 v[6:7], v255 offset:832
	ds_read_b64 v[8:9], v255 offset:840
	s_waitcnt lgkmcnt(1)
	v_fma_f64 v[0:1], v[4:5], v[6:7], v[0:1]
	v_mul_f64 v[4:5], v[79:80], v[2:3]
	v_mul_f64 v[4:5], v[83:84], v[4:5]
	v_mul_f64 v[6:7], v[43:44], v[4:5]
	v_mul_f64 v[6:7], v[243:244], v[6:7]
	s_waitcnt lgkmcnt(0)
	v_fma_f64 v[0:1], v[6:7], v[8:9], v[0:1]
	v_mul_f64 v[6:7], v[39:40], v[4:5]
	ds_read_b64 v[8:9], v255 offset:848
	v_mul_f64 v[6:7], v[229:230], v[6:7]
	s_waitcnt lgkmcnt(0)
	v_fma_f64 v[0:1], v[6:7], v[8:9], v[0:1]
	v_mul_f64 v[6:7], v[25:26], v[4:5]
	ds_read_b64 v[8:9], v255 offset:856
	v_mul_f64 v[6:7], v[239:240], v[6:7]
	s_waitcnt lgkmcnt(0)
	v_fma_f64 v[0:1], v[6:7], v[8:9], v[0:1]
	v_mul_f64 v[6:7], v[19:20], v[4:5]
	v_mul_f64 v[4:5], v[15:16], v[4:5]
	ds_read_b64 v[8:9], v255 offset:864
	v_mul_f64 v[6:7], v[235:236], v[6:7]
	v_mul_f64 v[4:5], v[127:128], v[4:5]
	s_waitcnt lgkmcnt(0)
	v_fma_f64 v[0:1], v[6:7], v[8:9], v[0:1]
	ds_read_b64 v[6:7], v255 offset:872
	ds_read_b64 v[8:9], v255 offset:880
	s_waitcnt lgkmcnt(1)
	v_fma_f64 v[0:1], v[4:5], v[6:7], v[0:1]
	v_mul_f64 v[4:5], v[65:66], v[2:3]
	v_mul_f64 v[4:5], v[71:72], v[4:5]
	v_mul_f64 v[6:7], v[43:44], v[4:5]
	v_mul_f64 v[6:7], v[243:244], v[6:7]
	;; [unrolled: 27-line block ×3, first 2 shown]
	v_mul_f64 v[6:7], v[43:44], v[4:5]
	v_mul_f64 v[6:7], v[243:244], v[6:7]
	s_waitcnt lgkmcnt(0)
	v_fma_f64 v[0:1], v[6:7], v[8:9], v[0:1]
	v_mul_f64 v[6:7], v[39:40], v[4:5]
	ds_read_b64 v[8:9], v255 offset:928
	v_mul_f64 v[6:7], v[229:230], v[6:7]
	s_waitcnt lgkmcnt(0)
	v_fma_f64 v[0:1], v[6:7], v[8:9], v[0:1]
	v_mul_f64 v[6:7], v[25:26], v[4:5]
	ds_read_b64 v[8:9], v255 offset:936
	v_mul_f64 v[6:7], v[239:240], v[6:7]
	s_waitcnt lgkmcnt(0)
	v_fma_f64 v[0:1], v[6:7], v[8:9], v[0:1]
	v_mul_f64 v[6:7], v[19:20], v[4:5]
	v_mul_f64 v[4:5], v[15:16], v[4:5]
	ds_read_b64 v[8:9], v255 offset:944
	v_mul_f64 v[6:7], v[235:236], v[6:7]
	v_mul_f64 v[4:5], v[127:128], v[4:5]
	s_waitcnt lgkmcnt(0)
	v_fma_f64 v[0:1], v[6:7], v[8:9], v[0:1]
	ds_read_b64 v[6:7], v255 offset:952
	s_waitcnt lgkmcnt(0)
	v_fma_f64 v[0:1], v[4:5], v[6:7], v[0:1]
	v_mul_f64 v[4:5], v[43:44], v[2:3]
	ds_read_b64 v[6:7], v255 offset:960
	v_mul_f64 v[4:5], v[243:244], v[4:5]
	s_waitcnt lgkmcnt(0)
	v_fma_f64 v[0:1], v[4:5], v[6:7], v[0:1]
	v_mul_f64 v[4:5], v[39:40], v[2:3]
	ds_read_b64 v[6:7], v255 offset:968
	v_mul_f64 v[4:5], v[229:230], v[4:5]
	;; [unrolled: 5-line block ×3, first 2 shown]
	s_waitcnt lgkmcnt(0)
	v_fma_f64 v[0:1], v[4:5], v[6:7], v[0:1]
	v_mul_f64 v[4:5], v[19:20], v[2:3]
	v_mul_f64 v[2:3], v[15:16], v[2:3]
	ds_read_b64 v[6:7], v255 offset:984
	v_mul_f64 v[4:5], v[235:236], v[4:5]
	v_mul_f64 v[2:3], v[127:128], v[2:3]
	s_waitcnt lgkmcnt(0)
	v_fma_f64 v[0:1], v[4:5], v[6:7], v[0:1]
	ds_read_b64 v[4:5], v255 offset:992
	s_waitcnt lgkmcnt(0)
	v_fma_f64 v[0:1], v[2:3], v[4:5], v[0:1]
	global_store_dwordx2 v[201:202], v[0:1], off offset:2048
	ds_read_b64 v[43:44], v131
	ds_read_b128 v[217:220], v255 offset:1024
	ds_read_b64 v[39:40], v131 offset:32
	ds_read_b128 v[213:216], v255 offset:1056
	ds_read_b64 v[25:26], v131 offset:64
	;; [unrolled: 2-line block ×4, first 2 shown]
	ds_read_b128 v[127:130], v255 offset:1152
	ds_read_b64 v[83:84], v132
	ds_read_b64 v[87:88], v255 offset:1016
	ds_read_b64 v[71:72], v132 offset:32
	;; [unrolled: 1-line block ×9, first 2 shown]
	ds_read_b64 v[0:1], v36
	ds_read_b64 v[2:3], v36 offset:32
	ds_read_b64 v[4:5], v136
	ds_read_b64 v[6:7], v136 offset:32
	;; [unrolled: 2-line block ×3, first 2 shown]
	ds_read_b64 v[31:32], v255 offset:16
	ds_read_b64 v[33:34], v255 offset:24
	;; [unrolled: 1-line block ×6, first 2 shown]
	s_waitcnt lgkmcnt(9)
	v_mul_f64 v[0:1], v[0:1], v[4:5]
	s_waitcnt lgkmcnt(8)
	v_mul_f64 v[2:3], v[2:3], v[6:7]
	v_mul_f64 v[4:5], v[83:84], v[0:1]
	v_mul_f64 v[4:5], v[87:88], v[4:5]
	v_mul_f64 v[8:9], v[43:44], v[4:5]
	v_mul_f64 v[8:9], v[219:220], v[8:9]
	s_waitcnt lgkmcnt(7)
	v_fma_f64 v[8:9], v[27:28], v[8:9], 0
	v_mul_f64 v[27:28], v[39:40], v[4:5]
	v_mul_f64 v[27:28], v[215:216], v[27:28]
	s_waitcnt lgkmcnt(6)
	v_fma_f64 v[8:9], v[29:30], v[27:28], v[8:9]
	v_mul_f64 v[27:28], v[25:26], v[4:5]
	ds_read_b64 v[29:30], v255 offset:64
	v_mul_f64 v[27:28], v[249:250], v[27:28]
	s_waitcnt lgkmcnt(6)
	v_fma_f64 v[8:9], v[31:32], v[27:28], v[8:9]
	v_mul_f64 v[27:28], v[19:20], v[4:5]
	v_mul_f64 v[4:5], v[15:16], v[4:5]
	;; [unrolled: 1-line block ×4, first 2 shown]
	s_waitcnt lgkmcnt(5)
	v_fma_f64 v[8:9], v[33:34], v[27:28], v[8:9]
	s_waitcnt lgkmcnt(4)
	v_fma_f64 v[4:5], v[4:5], v[73:74], v[8:9]
	v_mul_f64 v[8:9], v[71:72], v[0:1]
	v_mul_f64 v[8:9], v[79:80], v[8:9]
	;; [unrolled: 1-line block ×4, first 2 shown]
	s_waitcnt lgkmcnt(3)
	v_fma_f64 v[4:5], v[27:28], v[75:76], v[4:5]
	v_mul_f64 v[27:28], v[39:40], v[8:9]
	v_mul_f64 v[27:28], v[215:216], v[27:28]
	s_waitcnt lgkmcnt(2)
	v_fma_f64 v[4:5], v[27:28], v[91:92], v[4:5]
	v_mul_f64 v[27:28], v[25:26], v[8:9]
	v_mul_f64 v[27:28], v[249:250], v[27:28]
	;; [unrolled: 4-line block ×3, first 2 shown]
	v_mul_f64 v[27:28], v[245:246], v[27:28]
	v_mul_f64 v[8:9], v[129:130], v[8:9]
	s_waitcnt lgkmcnt(0)
	v_fma_f64 v[4:5], v[27:28], v[29:30], v[4:5]
	ds_read_b64 v[27:28], v255 offset:72
	ds_read_b64 v[29:30], v255 offset:80
	s_waitcnt lgkmcnt(1)
	v_fma_f64 v[4:5], v[8:9], v[27:28], v[4:5]
	v_mul_f64 v[8:9], v[65:66], v[0:1]
	v_mul_f64 v[8:9], v[69:70], v[8:9]
	;; [unrolled: 1-line block ×4, first 2 shown]
	s_waitcnt lgkmcnt(0)
	v_fma_f64 v[4:5], v[27:28], v[29:30], v[4:5]
	v_mul_f64 v[27:28], v[39:40], v[8:9]
	ds_read_b64 v[29:30], v255 offset:88
	v_mul_f64 v[27:28], v[215:216], v[27:28]
	s_waitcnt lgkmcnt(0)
	v_fma_f64 v[4:5], v[27:28], v[29:30], v[4:5]
	v_mul_f64 v[27:28], v[25:26], v[8:9]
	ds_read_b64 v[29:30], v255 offset:96
	v_mul_f64 v[27:28], v[249:250], v[27:28]
	s_waitcnt lgkmcnt(0)
	v_fma_f64 v[4:5], v[27:28], v[29:30], v[4:5]
	v_mul_f64 v[27:28], v[19:20], v[8:9]
	v_mul_f64 v[8:9], v[15:16], v[8:9]
	ds_read_b64 v[29:30], v255 offset:104
	v_mul_f64 v[27:28], v[245:246], v[27:28]
	v_mul_f64 v[8:9], v[129:130], v[8:9]
	s_waitcnt lgkmcnt(0)
	v_fma_f64 v[4:5], v[27:28], v[29:30], v[4:5]
	ds_read_b64 v[27:28], v255 offset:112
	ds_read_b64 v[29:30], v255 offset:120
	s_waitcnt lgkmcnt(1)
	v_fma_f64 v[4:5], v[8:9], v[27:28], v[4:5]
	v_mul_f64 v[8:9], v[57:58], v[0:1]
	v_mul_f64 v[0:1], v[47:48], v[0:1]
	;; [unrolled: 1-line block ×6, first 2 shown]
	s_waitcnt lgkmcnt(0)
	v_fma_f64 v[4:5], v[27:28], v[29:30], v[4:5]
	v_mul_f64 v[27:28], v[39:40], v[8:9]
	ds_read_b64 v[29:30], v255 offset:128
	v_mul_f64 v[27:28], v[215:216], v[27:28]
	s_waitcnt lgkmcnt(0)
	v_fma_f64 v[4:5], v[27:28], v[29:30], v[4:5]
	v_mul_f64 v[27:28], v[25:26], v[8:9]
	ds_read_b64 v[29:30], v255 offset:136
	v_mul_f64 v[27:28], v[249:250], v[27:28]
	s_waitcnt lgkmcnt(0)
	v_fma_f64 v[4:5], v[27:28], v[29:30], v[4:5]
	v_mul_f64 v[27:28], v[19:20], v[8:9]
	v_mul_f64 v[8:9], v[15:16], v[8:9]
	ds_read_b64 v[29:30], v255 offset:144
	v_mul_f64 v[27:28], v[245:246], v[27:28]
	v_mul_f64 v[8:9], v[129:130], v[8:9]
	s_waitcnt lgkmcnt(0)
	v_fma_f64 v[4:5], v[27:28], v[29:30], v[4:5]
	ds_read_b64 v[27:28], v255 offset:152
	s_waitcnt lgkmcnt(0)
	v_fma_f64 v[4:5], v[8:9], v[27:28], v[4:5]
	v_mul_f64 v[8:9], v[43:44], v[0:1]
	ds_read_b64 v[27:28], v255 offset:160
	v_mul_f64 v[8:9], v[219:220], v[8:9]
	s_waitcnt lgkmcnt(0)
	v_fma_f64 v[4:5], v[8:9], v[27:28], v[4:5]
	v_mul_f64 v[8:9], v[39:40], v[0:1]
	ds_read_b64 v[27:28], v255 offset:168
	v_mul_f64 v[8:9], v[215:216], v[8:9]
	;; [unrolled: 5-line block ×3, first 2 shown]
	s_waitcnt lgkmcnt(0)
	v_fma_f64 v[4:5], v[8:9], v[27:28], v[4:5]
	v_mul_f64 v[8:9], v[19:20], v[0:1]
	v_mul_f64 v[0:1], v[15:16], v[0:1]
	ds_read_b64 v[27:28], v255 offset:184
	v_mul_f64 v[8:9], v[245:246], v[8:9]
	v_mul_f64 v[0:1], v[129:130], v[0:1]
	s_waitcnt lgkmcnt(0)
	v_fma_f64 v[4:5], v[8:9], v[27:28], v[4:5]
	ds_read_b64 v[8:9], v255 offset:192
	s_waitcnt lgkmcnt(0)
	v_fma_f64 v[0:1], v[0:1], v[8:9], v[4:5]
	v_mul_f64 v[4:5], v[83:84], v[2:3]
	ds_read_b64 v[8:9], v255 offset:200
	v_mul_f64 v[4:5], v[87:88], v[4:5]
	v_mul_f64 v[6:7], v[43:44], v[4:5]
	v_mul_f64 v[6:7], v[219:220], v[6:7]
	s_waitcnt lgkmcnt(0)
	v_fma_f64 v[0:1], v[8:9], v[6:7], v[0:1]
	v_mul_f64 v[6:7], v[39:40], v[4:5]
	ds_read_b64 v[8:9], v255 offset:208
	v_mul_f64 v[6:7], v[215:216], v[6:7]
	s_waitcnt lgkmcnt(0)
	v_fma_f64 v[0:1], v[8:9], v[6:7], v[0:1]
	v_mul_f64 v[6:7], v[25:26], v[4:5]
	ds_read_b64 v[8:9], v255 offset:216
	v_mul_f64 v[6:7], v[249:250], v[6:7]
	s_waitcnt lgkmcnt(0)
	v_fma_f64 v[0:1], v[8:9], v[6:7], v[0:1]
	v_mul_f64 v[6:7], v[19:20], v[4:5]
	v_mul_f64 v[4:5], v[15:16], v[4:5]
	ds_read_b64 v[8:9], v255 offset:224
	v_mul_f64 v[6:7], v[245:246], v[6:7]
	v_mul_f64 v[4:5], v[129:130], v[4:5]
	s_waitcnt lgkmcnt(0)
	v_fma_f64 v[0:1], v[8:9], v[6:7], v[0:1]
	ds_read_b64 v[6:7], v255 offset:232
	ds_read_b64 v[8:9], v255 offset:240
	s_waitcnt lgkmcnt(1)
	v_fma_f64 v[0:1], v[4:5], v[6:7], v[0:1]
	v_mul_f64 v[4:5], v[71:72], v[2:3]
	v_mul_f64 v[4:5], v[79:80], v[4:5]
	v_mul_f64 v[6:7], v[43:44], v[4:5]
	v_mul_f64 v[6:7], v[219:220], v[6:7]
	s_waitcnt lgkmcnt(0)
	v_fma_f64 v[0:1], v[6:7], v[8:9], v[0:1]
	v_mul_f64 v[6:7], v[39:40], v[4:5]
	ds_read_b64 v[8:9], v255 offset:248
	v_mul_f64 v[6:7], v[215:216], v[6:7]
	s_waitcnt lgkmcnt(0)
	v_fma_f64 v[0:1], v[6:7], v[8:9], v[0:1]
	v_mul_f64 v[6:7], v[25:26], v[4:5]
	ds_read_b64 v[8:9], v255 offset:256
	v_mul_f64 v[6:7], v[249:250], v[6:7]
	s_waitcnt lgkmcnt(0)
	v_fma_f64 v[0:1], v[6:7], v[8:9], v[0:1]
	v_mul_f64 v[6:7], v[19:20], v[4:5]
	v_mul_f64 v[4:5], v[15:16], v[4:5]
	ds_read_b64 v[8:9], v255 offset:264
	v_mul_f64 v[6:7], v[245:246], v[6:7]
	v_mul_f64 v[4:5], v[129:130], v[4:5]
	s_waitcnt lgkmcnt(0)
	v_fma_f64 v[0:1], v[6:7], v[8:9], v[0:1]
	ds_read_b64 v[6:7], v255 offset:272
	ds_read_b64 v[8:9], v255 offset:280
	s_waitcnt lgkmcnt(1)
	v_fma_f64 v[0:1], v[4:5], v[6:7], v[0:1]
	v_mul_f64 v[4:5], v[65:66], v[2:3]
	;; [unrolled: 27-line block ×3, first 2 shown]
	v_mul_f64 v[2:3], v[47:48], v[2:3]
	v_mul_f64 v[4:5], v[61:62], v[4:5]
	;; [unrolled: 1-line block ×5, first 2 shown]
	s_waitcnt lgkmcnt(0)
	v_fma_f64 v[0:1], v[6:7], v[8:9], v[0:1]
	v_mul_f64 v[6:7], v[39:40], v[4:5]
	ds_read_b64 v[8:9], v255 offset:328
	v_mul_f64 v[6:7], v[215:216], v[6:7]
	s_waitcnt lgkmcnt(0)
	v_fma_f64 v[0:1], v[6:7], v[8:9], v[0:1]
	v_mul_f64 v[6:7], v[25:26], v[4:5]
	ds_read_b64 v[8:9], v255 offset:336
	v_mul_f64 v[6:7], v[249:250], v[6:7]
	s_waitcnt lgkmcnt(0)
	v_fma_f64 v[0:1], v[6:7], v[8:9], v[0:1]
	v_mul_f64 v[6:7], v[19:20], v[4:5]
	v_mul_f64 v[4:5], v[15:16], v[4:5]
	ds_read_b64 v[8:9], v255 offset:344
	v_mul_f64 v[6:7], v[245:246], v[6:7]
	v_mul_f64 v[4:5], v[129:130], v[4:5]
	s_waitcnt lgkmcnt(0)
	v_fma_f64 v[0:1], v[6:7], v[8:9], v[0:1]
	ds_read_b64 v[6:7], v255 offset:352
	s_waitcnt lgkmcnt(0)
	v_fma_f64 v[0:1], v[4:5], v[6:7], v[0:1]
	v_mul_f64 v[4:5], v[43:44], v[2:3]
	ds_read_b64 v[6:7], v255 offset:360
	v_mul_f64 v[4:5], v[219:220], v[4:5]
	s_waitcnt lgkmcnt(0)
	v_fma_f64 v[0:1], v[4:5], v[6:7], v[0:1]
	v_mul_f64 v[4:5], v[39:40], v[2:3]
	ds_read_b64 v[6:7], v255 offset:368
	v_mul_f64 v[4:5], v[215:216], v[4:5]
	s_waitcnt lgkmcnt(0)
	v_fma_f64 v[0:1], v[4:5], v[6:7], v[0:1]
	v_mul_f64 v[4:5], v[25:26], v[2:3]
	ds_read_b64 v[6:7], v255 offset:376
	v_mul_f64 v[4:5], v[249:250], v[4:5]
	s_waitcnt lgkmcnt(0)
	v_fma_f64 v[0:1], v[4:5], v[6:7], v[0:1]
	v_mul_f64 v[4:5], v[19:20], v[2:3]
	v_mul_f64 v[2:3], v[15:16], v[2:3]
	ds_read_b64 v[6:7], v255 offset:384
	v_mul_f64 v[4:5], v[245:246], v[4:5]
	v_mul_f64 v[2:3], v[129:130], v[2:3]
	s_waitcnt lgkmcnt(0)
	v_fma_f64 v[0:1], v[4:5], v[6:7], v[0:1]
	ds_read_b64 v[4:5], v255 offset:392
	s_waitcnt lgkmcnt(0)
	v_fma_f64 v[0:1], v[2:3], v[4:5], v[0:1]
	ds_read_b64 v[2:3], v36 offset:64
	ds_read_b64 v[4:5], v136 offset:64
	;; [unrolled: 1-line block ×3, first 2 shown]
	s_waitcnt lgkmcnt(1)
	v_mul_f64 v[2:3], v[2:3], v[4:5]
	v_mul_f64 v[4:5], v[83:84], v[2:3]
	;; [unrolled: 1-line block ×5, first 2 shown]
	s_waitcnt lgkmcnt(0)
	v_fma_f64 v[0:1], v[8:9], v[6:7], v[0:1]
	v_mul_f64 v[6:7], v[39:40], v[4:5]
	ds_read_b64 v[8:9], v255 offset:408
	v_mul_f64 v[6:7], v[215:216], v[6:7]
	s_waitcnt lgkmcnt(0)
	v_fma_f64 v[0:1], v[8:9], v[6:7], v[0:1]
	v_mul_f64 v[6:7], v[25:26], v[4:5]
	ds_read_b64 v[8:9], v255 offset:416
	v_mul_f64 v[6:7], v[249:250], v[6:7]
	s_waitcnt lgkmcnt(0)
	v_fma_f64 v[0:1], v[8:9], v[6:7], v[0:1]
	v_mul_f64 v[6:7], v[19:20], v[4:5]
	v_mul_f64 v[4:5], v[15:16], v[4:5]
	ds_read_b64 v[8:9], v255 offset:424
	v_mul_f64 v[6:7], v[245:246], v[6:7]
	v_mul_f64 v[4:5], v[129:130], v[4:5]
	s_waitcnt lgkmcnt(0)
	v_fma_f64 v[0:1], v[8:9], v[6:7], v[0:1]
	ds_read_b64 v[6:7], v255 offset:432
	ds_read_b64 v[8:9], v255 offset:440
	s_waitcnt lgkmcnt(1)
	v_fma_f64 v[0:1], v[4:5], v[6:7], v[0:1]
	v_mul_f64 v[4:5], v[71:72], v[2:3]
	v_mul_f64 v[4:5], v[79:80], v[4:5]
	v_mul_f64 v[6:7], v[43:44], v[4:5]
	v_mul_f64 v[6:7], v[219:220], v[6:7]
	s_waitcnt lgkmcnt(0)
	v_fma_f64 v[0:1], v[6:7], v[8:9], v[0:1]
	v_mul_f64 v[6:7], v[39:40], v[4:5]
	ds_read_b64 v[8:9], v255 offset:448
	v_mul_f64 v[6:7], v[215:216], v[6:7]
	s_waitcnt lgkmcnt(0)
	v_fma_f64 v[0:1], v[6:7], v[8:9], v[0:1]
	v_mul_f64 v[6:7], v[25:26], v[4:5]
	ds_read_b64 v[8:9], v255 offset:456
	v_mul_f64 v[6:7], v[249:250], v[6:7]
	s_waitcnt lgkmcnt(0)
	v_fma_f64 v[0:1], v[6:7], v[8:9], v[0:1]
	v_mul_f64 v[6:7], v[19:20], v[4:5]
	v_mul_f64 v[4:5], v[15:16], v[4:5]
	ds_read_b64 v[8:9], v255 offset:464
	v_mul_f64 v[6:7], v[245:246], v[6:7]
	v_mul_f64 v[4:5], v[129:130], v[4:5]
	s_waitcnt lgkmcnt(0)
	v_fma_f64 v[0:1], v[6:7], v[8:9], v[0:1]
	ds_read_b64 v[6:7], v255 offset:472
	ds_read_b64 v[8:9], v255 offset:480
	s_waitcnt lgkmcnt(1)
	v_fma_f64 v[0:1], v[4:5], v[6:7], v[0:1]
	v_mul_f64 v[4:5], v[65:66], v[2:3]
	v_mul_f64 v[4:5], v[69:70], v[4:5]
	v_mul_f64 v[6:7], v[43:44], v[4:5]
	v_mul_f64 v[6:7], v[219:220], v[6:7]
	;; [unrolled: 27-line block ×3, first 2 shown]
	v_mul_f64 v[6:7], v[43:44], v[4:5]
	v_mul_f64 v[6:7], v[219:220], v[6:7]
	s_waitcnt lgkmcnt(0)
	v_fma_f64 v[0:1], v[6:7], v[8:9], v[0:1]
	v_mul_f64 v[6:7], v[39:40], v[4:5]
	ds_read_b64 v[8:9], v255 offset:528
	v_mul_f64 v[6:7], v[215:216], v[6:7]
	s_waitcnt lgkmcnt(0)
	v_fma_f64 v[0:1], v[6:7], v[8:9], v[0:1]
	v_mul_f64 v[6:7], v[25:26], v[4:5]
	ds_read_b64 v[8:9], v255 offset:536
	v_mul_f64 v[6:7], v[249:250], v[6:7]
	s_waitcnt lgkmcnt(0)
	v_fma_f64 v[0:1], v[6:7], v[8:9], v[0:1]
	v_mul_f64 v[6:7], v[19:20], v[4:5]
	v_mul_f64 v[4:5], v[15:16], v[4:5]
	ds_read_b64 v[8:9], v255 offset:544
	v_mul_f64 v[6:7], v[245:246], v[6:7]
	v_mul_f64 v[4:5], v[129:130], v[4:5]
	s_waitcnt lgkmcnt(0)
	v_fma_f64 v[0:1], v[6:7], v[8:9], v[0:1]
	ds_read_b64 v[6:7], v255 offset:552
	s_waitcnt lgkmcnt(0)
	v_fma_f64 v[0:1], v[4:5], v[6:7], v[0:1]
	v_mul_f64 v[4:5], v[43:44], v[2:3]
	ds_read_b64 v[6:7], v255 offset:560
	v_mul_f64 v[4:5], v[219:220], v[4:5]
	s_waitcnt lgkmcnt(0)
	v_fma_f64 v[0:1], v[4:5], v[6:7], v[0:1]
	v_mul_f64 v[4:5], v[39:40], v[2:3]
	ds_read_b64 v[6:7], v255 offset:568
	v_mul_f64 v[4:5], v[215:216], v[4:5]
	;; [unrolled: 5-line block ×3, first 2 shown]
	s_waitcnt lgkmcnt(0)
	v_fma_f64 v[0:1], v[4:5], v[6:7], v[0:1]
	v_mul_f64 v[4:5], v[19:20], v[2:3]
	v_mul_f64 v[2:3], v[15:16], v[2:3]
	ds_read_b64 v[6:7], v255 offset:584
	v_mul_f64 v[4:5], v[245:246], v[4:5]
	v_mul_f64 v[2:3], v[129:130], v[2:3]
	s_waitcnt lgkmcnt(0)
	v_fma_f64 v[0:1], v[4:5], v[6:7], v[0:1]
	ds_read_b64 v[4:5], v255 offset:592
	s_waitcnt lgkmcnt(0)
	v_fma_f64 v[0:1], v[2:3], v[4:5], v[0:1]
	ds_read_b64 v[2:3], v36 offset:96
	ds_read_b64 v[4:5], v136 offset:96
	;; [unrolled: 1-line block ×3, first 2 shown]
	s_waitcnt lgkmcnt(1)
	v_mul_f64 v[2:3], v[2:3], v[4:5]
	v_mul_f64 v[4:5], v[83:84], v[2:3]
	;; [unrolled: 1-line block ×5, first 2 shown]
	s_waitcnt lgkmcnt(0)
	v_fma_f64 v[0:1], v[8:9], v[6:7], v[0:1]
	v_mul_f64 v[6:7], v[39:40], v[4:5]
	ds_read_b64 v[8:9], v255 offset:608
	v_mul_f64 v[6:7], v[215:216], v[6:7]
	s_waitcnt lgkmcnt(0)
	v_fma_f64 v[0:1], v[8:9], v[6:7], v[0:1]
	v_mul_f64 v[6:7], v[25:26], v[4:5]
	ds_read_b64 v[8:9], v255 offset:616
	v_mul_f64 v[6:7], v[249:250], v[6:7]
	s_waitcnt lgkmcnt(0)
	v_fma_f64 v[0:1], v[8:9], v[6:7], v[0:1]
	v_mul_f64 v[6:7], v[19:20], v[4:5]
	v_mul_f64 v[4:5], v[15:16], v[4:5]
	ds_read_b64 v[8:9], v255 offset:624
	v_mul_f64 v[6:7], v[245:246], v[6:7]
	v_mul_f64 v[4:5], v[129:130], v[4:5]
	s_waitcnt lgkmcnt(0)
	v_fma_f64 v[0:1], v[8:9], v[6:7], v[0:1]
	ds_read_b64 v[6:7], v255 offset:632
	ds_read_b64 v[8:9], v255 offset:640
	s_waitcnt lgkmcnt(1)
	v_fma_f64 v[0:1], v[4:5], v[6:7], v[0:1]
	v_mul_f64 v[4:5], v[71:72], v[2:3]
	v_mul_f64 v[4:5], v[79:80], v[4:5]
	v_mul_f64 v[6:7], v[43:44], v[4:5]
	v_mul_f64 v[6:7], v[219:220], v[6:7]
	s_waitcnt lgkmcnt(0)
	v_fma_f64 v[0:1], v[6:7], v[8:9], v[0:1]
	v_mul_f64 v[6:7], v[39:40], v[4:5]
	ds_read_b64 v[8:9], v255 offset:648
	v_mul_f64 v[6:7], v[215:216], v[6:7]
	s_waitcnt lgkmcnt(0)
	v_fma_f64 v[0:1], v[6:7], v[8:9], v[0:1]
	v_mul_f64 v[6:7], v[25:26], v[4:5]
	ds_read_b64 v[8:9], v255 offset:656
	v_mul_f64 v[6:7], v[249:250], v[6:7]
	s_waitcnt lgkmcnt(0)
	v_fma_f64 v[0:1], v[6:7], v[8:9], v[0:1]
	v_mul_f64 v[6:7], v[19:20], v[4:5]
	v_mul_f64 v[4:5], v[15:16], v[4:5]
	ds_read_b64 v[8:9], v255 offset:664
	v_mul_f64 v[6:7], v[245:246], v[6:7]
	v_mul_f64 v[4:5], v[129:130], v[4:5]
	s_waitcnt lgkmcnt(0)
	v_fma_f64 v[0:1], v[6:7], v[8:9], v[0:1]
	ds_read_b64 v[6:7], v255 offset:672
	ds_read_b64 v[8:9], v255 offset:680
	s_waitcnt lgkmcnt(1)
	v_fma_f64 v[0:1], v[4:5], v[6:7], v[0:1]
	v_mul_f64 v[4:5], v[65:66], v[2:3]
	v_mul_f64 v[4:5], v[69:70], v[4:5]
	v_mul_f64 v[6:7], v[43:44], v[4:5]
	v_mul_f64 v[6:7], v[219:220], v[6:7]
	;; [unrolled: 27-line block ×3, first 2 shown]
	v_mul_f64 v[6:7], v[43:44], v[4:5]
	v_mul_f64 v[6:7], v[219:220], v[6:7]
	s_waitcnt lgkmcnt(0)
	v_fma_f64 v[0:1], v[6:7], v[8:9], v[0:1]
	v_mul_f64 v[6:7], v[39:40], v[4:5]
	ds_read_b64 v[8:9], v255 offset:728
	v_mul_f64 v[6:7], v[215:216], v[6:7]
	s_waitcnt lgkmcnt(0)
	v_fma_f64 v[0:1], v[6:7], v[8:9], v[0:1]
	v_mul_f64 v[6:7], v[25:26], v[4:5]
	ds_read_b64 v[8:9], v255 offset:736
	v_mul_f64 v[6:7], v[249:250], v[6:7]
	s_waitcnt lgkmcnt(0)
	v_fma_f64 v[0:1], v[6:7], v[8:9], v[0:1]
	v_mul_f64 v[6:7], v[19:20], v[4:5]
	v_mul_f64 v[4:5], v[15:16], v[4:5]
	ds_read_b64 v[8:9], v255 offset:744
	v_mul_f64 v[6:7], v[245:246], v[6:7]
	v_mul_f64 v[4:5], v[129:130], v[4:5]
	s_waitcnt lgkmcnt(0)
	v_fma_f64 v[0:1], v[6:7], v[8:9], v[0:1]
	ds_read_b64 v[6:7], v255 offset:752
	s_waitcnt lgkmcnt(0)
	v_fma_f64 v[0:1], v[4:5], v[6:7], v[0:1]
	v_mul_f64 v[4:5], v[43:44], v[2:3]
	ds_read_b64 v[6:7], v255 offset:760
	v_mul_f64 v[4:5], v[219:220], v[4:5]
	s_waitcnt lgkmcnt(0)
	v_fma_f64 v[0:1], v[4:5], v[6:7], v[0:1]
	v_mul_f64 v[4:5], v[39:40], v[2:3]
	ds_read_b64 v[6:7], v255 offset:768
	v_mul_f64 v[4:5], v[215:216], v[4:5]
	;; [unrolled: 5-line block ×3, first 2 shown]
	s_waitcnt lgkmcnt(0)
	v_fma_f64 v[0:1], v[4:5], v[6:7], v[0:1]
	v_mul_f64 v[4:5], v[19:20], v[2:3]
	v_mul_f64 v[2:3], v[15:16], v[2:3]
	ds_read_b64 v[6:7], v255 offset:784
	v_mul_f64 v[4:5], v[245:246], v[4:5]
	v_mul_f64 v[2:3], v[129:130], v[2:3]
	s_waitcnt lgkmcnt(0)
	v_fma_f64 v[0:1], v[4:5], v[6:7], v[0:1]
	ds_read_b64 v[4:5], v255 offset:792
	s_waitcnt lgkmcnt(0)
	v_fma_f64 v[0:1], v[2:3], v[4:5], v[0:1]
	ds_read_b64 v[2:3], v36 offset:128
	ds_read_b64 v[4:5], v136 offset:128
	;; [unrolled: 1-line block ×3, first 2 shown]
	s_waitcnt lgkmcnt(1)
	v_mul_f64 v[2:3], v[2:3], v[4:5]
	v_mul_f64 v[4:5], v[83:84], v[2:3]
	;; [unrolled: 1-line block ×5, first 2 shown]
	s_waitcnt lgkmcnt(0)
	v_fma_f64 v[0:1], v[8:9], v[6:7], v[0:1]
	v_mul_f64 v[6:7], v[39:40], v[4:5]
	ds_read_b64 v[8:9], v255 offset:808
	v_mul_f64 v[6:7], v[215:216], v[6:7]
	s_waitcnt lgkmcnt(0)
	v_fma_f64 v[0:1], v[8:9], v[6:7], v[0:1]
	v_mul_f64 v[6:7], v[25:26], v[4:5]
	ds_read_b64 v[8:9], v255 offset:816
	v_mul_f64 v[6:7], v[249:250], v[6:7]
	s_waitcnt lgkmcnt(0)
	v_fma_f64 v[0:1], v[8:9], v[6:7], v[0:1]
	v_mul_f64 v[6:7], v[19:20], v[4:5]
	v_mul_f64 v[4:5], v[15:16], v[4:5]
	ds_read_b64 v[8:9], v255 offset:824
	v_mul_f64 v[6:7], v[245:246], v[6:7]
	v_mul_f64 v[4:5], v[129:130], v[4:5]
	s_waitcnt lgkmcnt(0)
	v_fma_f64 v[0:1], v[8:9], v[6:7], v[0:1]
	ds_read_b64 v[6:7], v255 offset:832
	ds_read_b64 v[8:9], v255 offset:840
	s_waitcnt lgkmcnt(1)
	v_fma_f64 v[0:1], v[4:5], v[6:7], v[0:1]
	v_mul_f64 v[4:5], v[71:72], v[2:3]
	v_mul_f64 v[4:5], v[79:80], v[4:5]
	v_mul_f64 v[6:7], v[43:44], v[4:5]
	v_mul_f64 v[6:7], v[219:220], v[6:7]
	s_waitcnt lgkmcnt(0)
	v_fma_f64 v[0:1], v[6:7], v[8:9], v[0:1]
	v_mul_f64 v[6:7], v[39:40], v[4:5]
	ds_read_b64 v[8:9], v255 offset:848
	v_mul_f64 v[6:7], v[215:216], v[6:7]
	s_waitcnt lgkmcnt(0)
	v_fma_f64 v[0:1], v[6:7], v[8:9], v[0:1]
	v_mul_f64 v[6:7], v[25:26], v[4:5]
	ds_read_b64 v[8:9], v255 offset:856
	v_mul_f64 v[6:7], v[249:250], v[6:7]
	s_waitcnt lgkmcnt(0)
	v_fma_f64 v[0:1], v[6:7], v[8:9], v[0:1]
	v_mul_f64 v[6:7], v[19:20], v[4:5]
	v_mul_f64 v[4:5], v[15:16], v[4:5]
	ds_read_b64 v[8:9], v255 offset:864
	v_mul_f64 v[6:7], v[245:246], v[6:7]
	v_mul_f64 v[4:5], v[129:130], v[4:5]
	s_waitcnt lgkmcnt(0)
	v_fma_f64 v[0:1], v[6:7], v[8:9], v[0:1]
	ds_read_b64 v[6:7], v255 offset:872
	ds_read_b64 v[8:9], v255 offset:880
	s_waitcnt lgkmcnt(1)
	v_fma_f64 v[0:1], v[4:5], v[6:7], v[0:1]
	v_mul_f64 v[4:5], v[65:66], v[2:3]
	v_mul_f64 v[4:5], v[69:70], v[4:5]
	v_mul_f64 v[6:7], v[43:44], v[4:5]
	v_mul_f64 v[6:7], v[219:220], v[6:7]
	;; [unrolled: 27-line block ×3, first 2 shown]
	v_mul_f64 v[6:7], v[43:44], v[4:5]
	v_mul_f64 v[6:7], v[219:220], v[6:7]
	s_waitcnt lgkmcnt(0)
	v_fma_f64 v[0:1], v[6:7], v[8:9], v[0:1]
	v_mul_f64 v[6:7], v[39:40], v[4:5]
	ds_read_b64 v[8:9], v255 offset:928
	v_mul_f64 v[6:7], v[215:216], v[6:7]
	s_waitcnt lgkmcnt(0)
	v_fma_f64 v[0:1], v[6:7], v[8:9], v[0:1]
	v_mul_f64 v[6:7], v[25:26], v[4:5]
	ds_read_b64 v[8:9], v255 offset:936
	v_mul_f64 v[6:7], v[249:250], v[6:7]
	s_waitcnt lgkmcnt(0)
	v_fma_f64 v[0:1], v[6:7], v[8:9], v[0:1]
	v_mul_f64 v[6:7], v[19:20], v[4:5]
	v_mul_f64 v[4:5], v[15:16], v[4:5]
	ds_read_b64 v[8:9], v255 offset:944
	v_mul_f64 v[6:7], v[245:246], v[6:7]
	v_mul_f64 v[4:5], v[129:130], v[4:5]
	s_waitcnt lgkmcnt(0)
	v_fma_f64 v[0:1], v[6:7], v[8:9], v[0:1]
	ds_read_b64 v[6:7], v255 offset:952
	s_waitcnt lgkmcnt(0)
	v_fma_f64 v[0:1], v[4:5], v[6:7], v[0:1]
	v_mul_f64 v[4:5], v[43:44], v[2:3]
	ds_read_b64 v[6:7], v255 offset:960
	v_mul_f64 v[4:5], v[219:220], v[4:5]
	s_waitcnt lgkmcnt(0)
	v_fma_f64 v[0:1], v[4:5], v[6:7], v[0:1]
	v_mul_f64 v[4:5], v[39:40], v[2:3]
	ds_read_b64 v[6:7], v255 offset:968
	v_mul_f64 v[4:5], v[215:216], v[4:5]
	s_waitcnt lgkmcnt(0)
	v_fma_f64 v[0:1], v[4:5], v[6:7], v[0:1]
	v_mul_f64 v[4:5], v[25:26], v[2:3]
	ds_read_b64 v[6:7], v255 offset:976
	v_mul_f64 v[4:5], v[249:250], v[4:5]
	s_waitcnt lgkmcnt(0)
	v_fma_f64 v[0:1], v[4:5], v[6:7], v[0:1]
	v_mul_f64 v[4:5], v[19:20], v[2:3]
	v_mul_f64 v[2:3], v[15:16], v[2:3]
	ds_read_b64 v[6:7], v255 offset:984
	v_mul_f64 v[4:5], v[245:246], v[4:5]
	v_mul_f64 v[2:3], v[129:130], v[2:3]
	s_waitcnt lgkmcnt(0)
	v_fma_f64 v[0:1], v[4:5], v[6:7], v[0:1]
	ds_read_b64 v[4:5], v255 offset:992
	s_waitcnt lgkmcnt(0)
	v_fma_f64 v[0:1], v[2:3], v[4:5], v[0:1]
	global_store_dwordx2 v[67:68], v[0:1], off offset:2048
	ds_read_b64 v[43:44], v131
	ds_read_b64 v[39:40], v131 offset:32
	ds_read2_b64 v[113:116], v255 offset0:129 offset1:130
	ds_read_b64 v[25:26], v131 offset:64
	ds_read2_b64 v[109:112], v255 offset0:133 offset1:134
	;; [unrolled: 2-line block ×4, first 2 shown]
	ds_read_b64 v[0:1], v132
	ds_read2_b64 v[69:72], v255 offset0:127 offset1:128
	ds_read_b64 v[2:3], v132 offset:32
	ds_read2_b64 v[65:68], v255 offset0:131 offset1:132
	ds_read_b64 v[4:5], v132 offset:64
	;; [unrolled: 2-line block ×4, first 2 shown]
	ds_read2_b64 v[101:104], v255 offset0:143 offset1:144
	ds_read_b64 v[6:7], v36
	ds_read_b64 v[8:9], v36 offset:32
	ds_read_b64 v[29:30], v136
	ds_read_b64 v[31:32], v136 offset:32
	;; [unrolled: 2-line block ×3, first 2 shown]
	ds_read_b64 v[61:62], v255 offset:16
	ds_read_b64 v[73:74], v255 offset:24
	;; [unrolled: 1-line block ×6, first 2 shown]
	s_waitcnt lgkmcnt(9)
	v_mul_f64 v[6:7], v[6:7], v[29:30]
	s_waitcnt lgkmcnt(8)
	v_mul_f64 v[8:9], v[8:9], v[31:32]
	v_mul_f64 v[29:30], v[0:1], v[6:7]
	;; [unrolled: 1-line block ×5, first 2 shown]
	s_waitcnt lgkmcnt(7)
	v_fma_f64 v[33:34], v[53:54], v[33:34], 0
	v_mul_f64 v[53:54], v[39:40], v[29:30]
	v_mul_f64 v[53:54], v[115:116], v[53:54]
	s_waitcnt lgkmcnt(6)
	v_fma_f64 v[33:34], v[57:58], v[53:54], v[33:34]
	v_mul_f64 v[53:54], v[25:26], v[29:30]
	ds_read_b64 v[57:58], v255 offset:64
	v_mul_f64 v[53:54], v[111:112], v[53:54]
	s_waitcnt lgkmcnt(6)
	v_fma_f64 v[33:34], v[61:62], v[53:54], v[33:34]
	v_mul_f64 v[53:54], v[19:20], v[29:30]
	v_mul_f64 v[29:30], v[15:16], v[29:30]
	;; [unrolled: 1-line block ×4, first 2 shown]
	s_waitcnt lgkmcnt(5)
	v_fma_f64 v[33:34], v[73:74], v[53:54], v[33:34]
	s_waitcnt lgkmcnt(4)
	v_fma_f64 v[29:30], v[29:30], v[75:76], v[33:34]
	v_mul_f64 v[33:34], v[2:3], v[6:7]
	v_mul_f64 v[33:34], v[67:68], v[33:34]
	;; [unrolled: 1-line block ×4, first 2 shown]
	s_waitcnt lgkmcnt(3)
	v_fma_f64 v[29:30], v[53:54], v[79:80], v[29:30]
	v_mul_f64 v[53:54], v[39:40], v[33:34]
	v_mul_f64 v[53:54], v[115:116], v[53:54]
	s_waitcnt lgkmcnt(2)
	v_fma_f64 v[29:30], v[53:54], v[83:84], v[29:30]
	v_mul_f64 v[53:54], v[25:26], v[33:34]
	v_mul_f64 v[53:54], v[111:112], v[53:54]
	;; [unrolled: 4-line block ×3, first 2 shown]
	v_mul_f64 v[53:54], v[203:204], v[53:54]
	v_mul_f64 v[33:34], v[251:252], v[33:34]
	s_waitcnt lgkmcnt(0)
	v_fma_f64 v[29:30], v[53:54], v[57:58], v[29:30]
	ds_read_b64 v[53:54], v255 offset:72
	ds_read_b64 v[57:58], v255 offset:80
	s_waitcnt lgkmcnt(1)
	v_fma_f64 v[29:30], v[33:34], v[53:54], v[29:30]
	v_mul_f64 v[33:34], v[4:5], v[6:7]
	v_mul_f64 v[33:34], v[97:98], v[33:34]
	;; [unrolled: 1-line block ×4, first 2 shown]
	s_waitcnt lgkmcnt(0)
	v_fma_f64 v[29:30], v[53:54], v[57:58], v[29:30]
	v_mul_f64 v[53:54], v[39:40], v[33:34]
	ds_read_b64 v[57:58], v255 offset:88
	v_mul_f64 v[53:54], v[115:116], v[53:54]
	s_waitcnt lgkmcnt(0)
	v_fma_f64 v[29:30], v[53:54], v[57:58], v[29:30]
	v_mul_f64 v[53:54], v[25:26], v[33:34]
	ds_read_b64 v[57:58], v255 offset:96
	v_mul_f64 v[53:54], v[111:112], v[53:54]
	s_waitcnt lgkmcnt(0)
	v_fma_f64 v[29:30], v[53:54], v[57:58], v[29:30]
	v_mul_f64 v[53:54], v[19:20], v[33:34]
	v_mul_f64 v[33:34], v[15:16], v[33:34]
	ds_read_b64 v[57:58], v255 offset:104
	v_mul_f64 v[53:54], v[203:204], v[53:54]
	v_mul_f64 v[33:34], v[251:252], v[33:34]
	s_waitcnt lgkmcnt(0)
	v_fma_f64 v[29:30], v[53:54], v[57:58], v[29:30]
	ds_read_b64 v[53:54], v255 offset:112
	ds_read_b64 v[57:58], v255 offset:120
	s_waitcnt lgkmcnt(1)
	v_fma_f64 v[29:30], v[33:34], v[53:54], v[29:30]
	v_mul_f64 v[33:34], v[27:28], v[6:7]
	v_mul_f64 v[6:7], v[47:48], v[6:7]
	;; [unrolled: 1-line block ×6, first 2 shown]
	s_waitcnt lgkmcnt(0)
	v_fma_f64 v[29:30], v[53:54], v[57:58], v[29:30]
	v_mul_f64 v[53:54], v[39:40], v[33:34]
	ds_read_b64 v[57:58], v255 offset:128
	v_mul_f64 v[53:54], v[115:116], v[53:54]
	s_waitcnt lgkmcnt(0)
	v_fma_f64 v[29:30], v[53:54], v[57:58], v[29:30]
	v_mul_f64 v[53:54], v[25:26], v[33:34]
	ds_read_b64 v[57:58], v255 offset:136
	v_mul_f64 v[53:54], v[111:112], v[53:54]
	s_waitcnt lgkmcnt(0)
	v_fma_f64 v[29:30], v[53:54], v[57:58], v[29:30]
	v_mul_f64 v[53:54], v[19:20], v[33:34]
	v_mul_f64 v[33:34], v[15:16], v[33:34]
	ds_read_b64 v[57:58], v255 offset:144
	v_mul_f64 v[53:54], v[203:204], v[53:54]
	v_mul_f64 v[33:34], v[251:252], v[33:34]
	s_waitcnt lgkmcnt(0)
	v_fma_f64 v[29:30], v[53:54], v[57:58], v[29:30]
	ds_read_b64 v[53:54], v255 offset:152
	s_waitcnt lgkmcnt(0)
	v_fma_f64 v[29:30], v[33:34], v[53:54], v[29:30]
	v_mul_f64 v[33:34], v[43:44], v[6:7]
	ds_read_b64 v[53:54], v255 offset:160
	v_mul_f64 v[33:34], v[207:208], v[33:34]
	s_waitcnt lgkmcnt(0)
	v_fma_f64 v[29:30], v[33:34], v[53:54], v[29:30]
	v_mul_f64 v[33:34], v[39:40], v[6:7]
	ds_read_b64 v[53:54], v255 offset:168
	v_mul_f64 v[33:34], v[115:116], v[33:34]
	;; [unrolled: 5-line block ×3, first 2 shown]
	s_waitcnt lgkmcnt(0)
	v_fma_f64 v[29:30], v[33:34], v[53:54], v[29:30]
	v_mul_f64 v[33:34], v[19:20], v[6:7]
	v_mul_f64 v[6:7], v[15:16], v[6:7]
	ds_read_b64 v[53:54], v255 offset:184
	v_mul_f64 v[33:34], v[203:204], v[33:34]
	v_mul_f64 v[6:7], v[251:252], v[6:7]
	s_waitcnt lgkmcnt(0)
	v_fma_f64 v[29:30], v[33:34], v[53:54], v[29:30]
	ds_read_b64 v[33:34], v255 offset:192
	s_waitcnt lgkmcnt(0)
	v_fma_f64 v[6:7], v[6:7], v[33:34], v[29:30]
	v_mul_f64 v[29:30], v[0:1], v[8:9]
	ds_read_b64 v[33:34], v255 offset:200
	v_mul_f64 v[29:30], v[71:72], v[29:30]
	v_mul_f64 v[31:32], v[43:44], v[29:30]
	v_mul_f64 v[31:32], v[207:208], v[31:32]
	s_waitcnt lgkmcnt(0)
	v_fma_f64 v[6:7], v[33:34], v[31:32], v[6:7]
	v_mul_f64 v[31:32], v[39:40], v[29:30]
	ds_read_b64 v[33:34], v255 offset:208
	v_mul_f64 v[31:32], v[115:116], v[31:32]
	s_waitcnt lgkmcnt(0)
	v_fma_f64 v[6:7], v[33:34], v[31:32], v[6:7]
	v_mul_f64 v[31:32], v[25:26], v[29:30]
	ds_read_b64 v[33:34], v255 offset:216
	v_mul_f64 v[31:32], v[111:112], v[31:32]
	s_waitcnt lgkmcnt(0)
	v_fma_f64 v[6:7], v[33:34], v[31:32], v[6:7]
	v_mul_f64 v[31:32], v[19:20], v[29:30]
	v_mul_f64 v[29:30], v[15:16], v[29:30]
	ds_read_b64 v[33:34], v255 offset:224
	v_mul_f64 v[31:32], v[203:204], v[31:32]
	v_mul_f64 v[29:30], v[251:252], v[29:30]
	s_waitcnt lgkmcnt(0)
	v_fma_f64 v[6:7], v[33:34], v[31:32], v[6:7]
	ds_read_b64 v[31:32], v255 offset:232
	ds_read_b64 v[33:34], v255 offset:240
	s_waitcnt lgkmcnt(1)
	v_fma_f64 v[6:7], v[29:30], v[31:32], v[6:7]
	v_mul_f64 v[29:30], v[2:3], v[8:9]
	v_mul_f64 v[29:30], v[67:68], v[29:30]
	v_mul_f64 v[31:32], v[43:44], v[29:30]
	v_mul_f64 v[31:32], v[207:208], v[31:32]
	s_waitcnt lgkmcnt(0)
	v_fma_f64 v[6:7], v[31:32], v[33:34], v[6:7]
	v_mul_f64 v[31:32], v[39:40], v[29:30]
	ds_read_b64 v[33:34], v255 offset:248
	v_mul_f64 v[31:32], v[115:116], v[31:32]
	s_waitcnt lgkmcnt(0)
	v_fma_f64 v[6:7], v[31:32], v[33:34], v[6:7]
	v_mul_f64 v[31:32], v[25:26], v[29:30]
	ds_read_b64 v[33:34], v255 offset:256
	v_mul_f64 v[31:32], v[111:112], v[31:32]
	s_waitcnt lgkmcnt(0)
	v_fma_f64 v[6:7], v[31:32], v[33:34], v[6:7]
	v_mul_f64 v[31:32], v[19:20], v[29:30]
	v_mul_f64 v[29:30], v[15:16], v[29:30]
	ds_read_b64 v[33:34], v255 offset:264
	v_mul_f64 v[31:32], v[203:204], v[31:32]
	v_mul_f64 v[29:30], v[251:252], v[29:30]
	s_waitcnt lgkmcnt(0)
	v_fma_f64 v[6:7], v[31:32], v[33:34], v[6:7]
	ds_read_b64 v[31:32], v255 offset:272
	ds_read_b64 v[33:34], v255 offset:280
	s_waitcnt lgkmcnt(1)
	v_fma_f64 v[6:7], v[29:30], v[31:32], v[6:7]
	v_mul_f64 v[29:30], v[4:5], v[8:9]
	;; [unrolled: 27-line block ×3, first 2 shown]
	v_mul_f64 v[8:9], v[47:48], v[8:9]
	v_mul_f64 v[29:30], v[107:108], v[29:30]
	;; [unrolled: 1-line block ×5, first 2 shown]
	s_waitcnt lgkmcnt(0)
	v_fma_f64 v[6:7], v[31:32], v[33:34], v[6:7]
	v_mul_f64 v[31:32], v[39:40], v[29:30]
	ds_read_b64 v[33:34], v255 offset:328
	v_mul_f64 v[31:32], v[115:116], v[31:32]
	s_waitcnt lgkmcnt(0)
	v_fma_f64 v[6:7], v[31:32], v[33:34], v[6:7]
	v_mul_f64 v[31:32], v[25:26], v[29:30]
	ds_read_b64 v[33:34], v255 offset:336
	v_mul_f64 v[31:32], v[111:112], v[31:32]
	s_waitcnt lgkmcnt(0)
	v_fma_f64 v[6:7], v[31:32], v[33:34], v[6:7]
	v_mul_f64 v[31:32], v[19:20], v[29:30]
	v_mul_f64 v[29:30], v[15:16], v[29:30]
	ds_read_b64 v[33:34], v255 offset:344
	v_mul_f64 v[31:32], v[203:204], v[31:32]
	v_mul_f64 v[29:30], v[251:252], v[29:30]
	s_waitcnt lgkmcnt(0)
	v_fma_f64 v[6:7], v[31:32], v[33:34], v[6:7]
	ds_read_b64 v[31:32], v255 offset:352
	s_waitcnt lgkmcnt(0)
	v_fma_f64 v[6:7], v[29:30], v[31:32], v[6:7]
	v_mul_f64 v[29:30], v[43:44], v[8:9]
	ds_read_b64 v[31:32], v255 offset:360
	v_mul_f64 v[29:30], v[207:208], v[29:30]
	s_waitcnt lgkmcnt(0)
	v_fma_f64 v[6:7], v[29:30], v[31:32], v[6:7]
	v_mul_f64 v[29:30], v[39:40], v[8:9]
	ds_read_b64 v[31:32], v255 offset:368
	v_mul_f64 v[29:30], v[115:116], v[29:30]
	;; [unrolled: 5-line block ×3, first 2 shown]
	s_waitcnt lgkmcnt(0)
	v_fma_f64 v[6:7], v[29:30], v[31:32], v[6:7]
	v_mul_f64 v[29:30], v[19:20], v[8:9]
	v_mul_f64 v[8:9], v[15:16], v[8:9]
	ds_read_b64 v[31:32], v255 offset:384
	v_mul_f64 v[29:30], v[203:204], v[29:30]
	v_mul_f64 v[8:9], v[251:252], v[8:9]
	s_waitcnt lgkmcnt(0)
	v_fma_f64 v[6:7], v[29:30], v[31:32], v[6:7]
	ds_read_b64 v[29:30], v255 offset:392
	s_waitcnt lgkmcnt(0)
	v_fma_f64 v[6:7], v[8:9], v[29:30], v[6:7]
	ds_read_b64 v[8:9], v36 offset:64
	ds_read_b64 v[29:30], v136 offset:64
	;; [unrolled: 1-line block ×3, first 2 shown]
	s_waitcnt lgkmcnt(1)
	v_mul_f64 v[8:9], v[8:9], v[29:30]
	v_mul_f64 v[29:30], v[0:1], v[8:9]
	;; [unrolled: 1-line block ×5, first 2 shown]
	s_waitcnt lgkmcnt(0)
	v_fma_f64 v[6:7], v[33:34], v[31:32], v[6:7]
	v_mul_f64 v[31:32], v[39:40], v[29:30]
	ds_read_b64 v[33:34], v255 offset:408
	v_mul_f64 v[31:32], v[115:116], v[31:32]
	s_waitcnt lgkmcnt(0)
	v_fma_f64 v[6:7], v[33:34], v[31:32], v[6:7]
	v_mul_f64 v[31:32], v[25:26], v[29:30]
	ds_read_b64 v[33:34], v255 offset:416
	v_mul_f64 v[31:32], v[111:112], v[31:32]
	s_waitcnt lgkmcnt(0)
	v_fma_f64 v[6:7], v[33:34], v[31:32], v[6:7]
	v_mul_f64 v[31:32], v[19:20], v[29:30]
	v_mul_f64 v[29:30], v[15:16], v[29:30]
	ds_read_b64 v[33:34], v255 offset:424
	v_mul_f64 v[31:32], v[203:204], v[31:32]
	v_mul_f64 v[29:30], v[251:252], v[29:30]
	s_waitcnt lgkmcnt(0)
	v_fma_f64 v[6:7], v[33:34], v[31:32], v[6:7]
	ds_read_b64 v[31:32], v255 offset:432
	ds_read_b64 v[33:34], v255 offset:440
	s_waitcnt lgkmcnt(1)
	v_fma_f64 v[6:7], v[29:30], v[31:32], v[6:7]
	v_mul_f64 v[29:30], v[2:3], v[8:9]
	v_mul_f64 v[29:30], v[67:68], v[29:30]
	v_mul_f64 v[31:32], v[43:44], v[29:30]
	v_mul_f64 v[31:32], v[207:208], v[31:32]
	s_waitcnt lgkmcnt(0)
	v_fma_f64 v[6:7], v[31:32], v[33:34], v[6:7]
	v_mul_f64 v[31:32], v[39:40], v[29:30]
	ds_read_b64 v[33:34], v255 offset:448
	v_mul_f64 v[31:32], v[115:116], v[31:32]
	s_waitcnt lgkmcnt(0)
	v_fma_f64 v[6:7], v[31:32], v[33:34], v[6:7]
	v_mul_f64 v[31:32], v[25:26], v[29:30]
	ds_read_b64 v[33:34], v255 offset:456
	v_mul_f64 v[31:32], v[111:112], v[31:32]
	s_waitcnt lgkmcnt(0)
	v_fma_f64 v[6:7], v[31:32], v[33:34], v[6:7]
	v_mul_f64 v[31:32], v[19:20], v[29:30]
	v_mul_f64 v[29:30], v[15:16], v[29:30]
	ds_read_b64 v[33:34], v255 offset:464
	v_mul_f64 v[31:32], v[203:204], v[31:32]
	v_mul_f64 v[29:30], v[251:252], v[29:30]
	s_waitcnt lgkmcnt(0)
	v_fma_f64 v[6:7], v[31:32], v[33:34], v[6:7]
	ds_read_b64 v[31:32], v255 offset:472
	ds_read_b64 v[33:34], v255 offset:480
	s_waitcnt lgkmcnt(1)
	v_fma_f64 v[6:7], v[29:30], v[31:32], v[6:7]
	v_mul_f64 v[29:30], v[4:5], v[8:9]
	v_mul_f64 v[29:30], v[97:98], v[29:30]
	v_mul_f64 v[31:32], v[43:44], v[29:30]
	v_mul_f64 v[31:32], v[207:208], v[31:32]
	;; [unrolled: 27-line block ×3, first 2 shown]
	v_mul_f64 v[31:32], v[43:44], v[29:30]
	v_mul_f64 v[31:32], v[207:208], v[31:32]
	s_waitcnt lgkmcnt(0)
	v_fma_f64 v[6:7], v[31:32], v[33:34], v[6:7]
	v_mul_f64 v[31:32], v[39:40], v[29:30]
	ds_read_b64 v[33:34], v255 offset:528
	v_mul_f64 v[31:32], v[115:116], v[31:32]
	s_waitcnt lgkmcnt(0)
	v_fma_f64 v[6:7], v[31:32], v[33:34], v[6:7]
	v_mul_f64 v[31:32], v[25:26], v[29:30]
	ds_read_b64 v[33:34], v255 offset:536
	v_mul_f64 v[31:32], v[111:112], v[31:32]
	s_waitcnt lgkmcnt(0)
	v_fma_f64 v[6:7], v[31:32], v[33:34], v[6:7]
	v_mul_f64 v[31:32], v[19:20], v[29:30]
	v_mul_f64 v[29:30], v[15:16], v[29:30]
	ds_read_b64 v[33:34], v255 offset:544
	v_mul_f64 v[31:32], v[203:204], v[31:32]
	v_mul_f64 v[29:30], v[251:252], v[29:30]
	s_waitcnt lgkmcnt(0)
	v_fma_f64 v[6:7], v[31:32], v[33:34], v[6:7]
	ds_read_b64 v[31:32], v255 offset:552
	s_waitcnt lgkmcnt(0)
	v_fma_f64 v[6:7], v[29:30], v[31:32], v[6:7]
	v_mul_f64 v[29:30], v[43:44], v[8:9]
	ds_read_b64 v[31:32], v255 offset:560
	v_mul_f64 v[29:30], v[207:208], v[29:30]
	s_waitcnt lgkmcnt(0)
	v_fma_f64 v[6:7], v[29:30], v[31:32], v[6:7]
	v_mul_f64 v[29:30], v[39:40], v[8:9]
	ds_read_b64 v[31:32], v255 offset:568
	v_mul_f64 v[29:30], v[115:116], v[29:30]
	;; [unrolled: 5-line block ×3, first 2 shown]
	s_waitcnt lgkmcnt(0)
	v_fma_f64 v[6:7], v[29:30], v[31:32], v[6:7]
	v_mul_f64 v[29:30], v[19:20], v[8:9]
	v_mul_f64 v[8:9], v[15:16], v[8:9]
	ds_read_b64 v[31:32], v255 offset:584
	v_mul_f64 v[29:30], v[203:204], v[29:30]
	v_mul_f64 v[8:9], v[251:252], v[8:9]
	s_waitcnt lgkmcnt(0)
	v_fma_f64 v[6:7], v[29:30], v[31:32], v[6:7]
	ds_read_b64 v[29:30], v255 offset:592
	s_waitcnt lgkmcnt(0)
	v_fma_f64 v[6:7], v[8:9], v[29:30], v[6:7]
	ds_read_b64 v[8:9], v36 offset:96
	ds_read_b64 v[29:30], v136 offset:96
	;; [unrolled: 1-line block ×3, first 2 shown]
	s_waitcnt lgkmcnt(1)
	v_mul_f64 v[8:9], v[8:9], v[29:30]
	v_mul_f64 v[29:30], v[0:1], v[8:9]
	;; [unrolled: 1-line block ×5, first 2 shown]
	s_waitcnt lgkmcnt(0)
	v_fma_f64 v[6:7], v[33:34], v[31:32], v[6:7]
	v_mul_f64 v[31:32], v[39:40], v[29:30]
	ds_read_b64 v[33:34], v255 offset:608
	v_mul_f64 v[31:32], v[115:116], v[31:32]
	s_waitcnt lgkmcnt(0)
	v_fma_f64 v[6:7], v[33:34], v[31:32], v[6:7]
	v_mul_f64 v[31:32], v[25:26], v[29:30]
	ds_read_b64 v[33:34], v255 offset:616
	v_mul_f64 v[31:32], v[111:112], v[31:32]
	s_waitcnt lgkmcnt(0)
	v_fma_f64 v[6:7], v[33:34], v[31:32], v[6:7]
	v_mul_f64 v[31:32], v[19:20], v[29:30]
	v_mul_f64 v[29:30], v[15:16], v[29:30]
	ds_read_b64 v[33:34], v255 offset:624
	v_mul_f64 v[31:32], v[203:204], v[31:32]
	v_mul_f64 v[29:30], v[251:252], v[29:30]
	s_waitcnt lgkmcnt(0)
	v_fma_f64 v[6:7], v[33:34], v[31:32], v[6:7]
	ds_read_b64 v[31:32], v255 offset:632
	ds_read_b64 v[33:34], v255 offset:640
	s_waitcnt lgkmcnt(1)
	v_fma_f64 v[6:7], v[29:30], v[31:32], v[6:7]
	v_mul_f64 v[29:30], v[2:3], v[8:9]
	v_mul_f64 v[29:30], v[67:68], v[29:30]
	v_mul_f64 v[31:32], v[43:44], v[29:30]
	v_mul_f64 v[31:32], v[207:208], v[31:32]
	s_waitcnt lgkmcnt(0)
	v_fma_f64 v[6:7], v[31:32], v[33:34], v[6:7]
	v_mul_f64 v[31:32], v[39:40], v[29:30]
	ds_read_b64 v[33:34], v255 offset:648
	v_mul_f64 v[31:32], v[115:116], v[31:32]
	s_waitcnt lgkmcnt(0)
	v_fma_f64 v[6:7], v[31:32], v[33:34], v[6:7]
	v_mul_f64 v[31:32], v[25:26], v[29:30]
	ds_read_b64 v[33:34], v255 offset:656
	v_mul_f64 v[31:32], v[111:112], v[31:32]
	s_waitcnt lgkmcnt(0)
	v_fma_f64 v[6:7], v[31:32], v[33:34], v[6:7]
	v_mul_f64 v[31:32], v[19:20], v[29:30]
	v_mul_f64 v[29:30], v[15:16], v[29:30]
	ds_read_b64 v[33:34], v255 offset:664
	v_mul_f64 v[31:32], v[203:204], v[31:32]
	v_mul_f64 v[29:30], v[251:252], v[29:30]
	s_waitcnt lgkmcnt(0)
	v_fma_f64 v[6:7], v[31:32], v[33:34], v[6:7]
	ds_read_b64 v[31:32], v255 offset:672
	ds_read_b64 v[33:34], v255 offset:680
	s_waitcnt lgkmcnt(1)
	v_fma_f64 v[6:7], v[29:30], v[31:32], v[6:7]
	v_mul_f64 v[29:30], v[4:5], v[8:9]
	v_mul_f64 v[29:30], v[97:98], v[29:30]
	v_mul_f64 v[31:32], v[43:44], v[29:30]
	v_mul_f64 v[31:32], v[207:208], v[31:32]
	;; [unrolled: 27-line block ×3, first 2 shown]
	v_mul_f64 v[31:32], v[43:44], v[29:30]
	v_mul_f64 v[31:32], v[207:208], v[31:32]
	s_waitcnt lgkmcnt(0)
	v_fma_f64 v[6:7], v[31:32], v[33:34], v[6:7]
	v_mul_f64 v[31:32], v[39:40], v[29:30]
	ds_read_b64 v[33:34], v255 offset:728
	v_mul_f64 v[31:32], v[115:116], v[31:32]
	s_waitcnt lgkmcnt(0)
	v_fma_f64 v[6:7], v[31:32], v[33:34], v[6:7]
	v_mul_f64 v[31:32], v[25:26], v[29:30]
	ds_read_b64 v[33:34], v255 offset:736
	v_mul_f64 v[31:32], v[111:112], v[31:32]
	s_waitcnt lgkmcnt(0)
	v_fma_f64 v[6:7], v[31:32], v[33:34], v[6:7]
	v_mul_f64 v[31:32], v[19:20], v[29:30]
	v_mul_f64 v[29:30], v[15:16], v[29:30]
	ds_read_b64 v[33:34], v255 offset:744
	v_mul_f64 v[31:32], v[203:204], v[31:32]
	v_mul_f64 v[29:30], v[251:252], v[29:30]
	s_waitcnt lgkmcnt(0)
	v_fma_f64 v[6:7], v[31:32], v[33:34], v[6:7]
	ds_read_b64 v[31:32], v255 offset:752
	s_waitcnt lgkmcnt(0)
	v_fma_f64 v[6:7], v[29:30], v[31:32], v[6:7]
	v_mul_f64 v[29:30], v[43:44], v[8:9]
	ds_read_b64 v[31:32], v255 offset:760
	v_mul_f64 v[29:30], v[207:208], v[29:30]
	s_waitcnt lgkmcnt(0)
	v_fma_f64 v[6:7], v[29:30], v[31:32], v[6:7]
	v_mul_f64 v[29:30], v[39:40], v[8:9]
	ds_read_b64 v[31:32], v255 offset:768
	v_mul_f64 v[29:30], v[115:116], v[29:30]
	;; [unrolled: 5-line block ×3, first 2 shown]
	s_waitcnt lgkmcnt(0)
	v_fma_f64 v[6:7], v[29:30], v[31:32], v[6:7]
	v_mul_f64 v[29:30], v[19:20], v[8:9]
	v_mul_f64 v[8:9], v[15:16], v[8:9]
	ds_read_b64 v[31:32], v255 offset:784
	v_mul_f64 v[29:30], v[203:204], v[29:30]
	v_mul_f64 v[8:9], v[251:252], v[8:9]
	s_waitcnt lgkmcnt(0)
	v_fma_f64 v[6:7], v[29:30], v[31:32], v[6:7]
	ds_read_b64 v[29:30], v255 offset:792
	s_waitcnt lgkmcnt(0)
	v_fma_f64 v[6:7], v[8:9], v[29:30], v[6:7]
	ds_read_b64 v[8:9], v36 offset:128
	ds_read_b64 v[29:30], v136 offset:128
	;; [unrolled: 1-line block ×3, first 2 shown]
	s_waitcnt lgkmcnt(1)
	v_mul_f64 v[8:9], v[8:9], v[29:30]
	v_mul_f64 v[0:1], v[0:1], v[8:9]
	;; [unrolled: 1-line block ×7, first 2 shown]
	s_waitcnt lgkmcnt(0)
	v_fma_f64 v[6:7], v[31:32], v[29:30], v[6:7]
	v_mul_f64 v[29:30], v[39:40], v[0:1]
	ds_read_b64 v[31:32], v255 offset:808
	v_mul_f64 v[29:30], v[115:116], v[29:30]
	s_waitcnt lgkmcnt(0)
	v_fma_f64 v[6:7], v[31:32], v[29:30], v[6:7]
	v_mul_f64 v[29:30], v[25:26], v[0:1]
	ds_read_b64 v[31:32], v255 offset:816
	v_mul_f64 v[29:30], v[111:112], v[29:30]
	s_waitcnt lgkmcnt(0)
	v_fma_f64 v[6:7], v[31:32], v[29:30], v[6:7]
	v_mul_f64 v[29:30], v[19:20], v[0:1]
	v_mul_f64 v[0:1], v[15:16], v[0:1]
	ds_read_b64 v[31:32], v255 offset:824
	v_mul_f64 v[29:30], v[203:204], v[29:30]
	v_mul_f64 v[0:1], v[251:252], v[0:1]
	s_waitcnt lgkmcnt(0)
	v_fma_f64 v[6:7], v[31:32], v[29:30], v[6:7]
	ds_read_b64 v[29:30], v255 offset:832
	s_waitcnt lgkmcnt(0)
	v_fma_f64 v[0:1], v[0:1], v[29:30], v[6:7]
	v_mul_f64 v[6:7], v[43:44], v[2:3]
	ds_read_b64 v[29:30], v255 offset:840
	v_mul_f64 v[6:7], v[207:208], v[6:7]
	s_waitcnt lgkmcnt(0)
	v_fma_f64 v[0:1], v[6:7], v[29:30], v[0:1]
	v_mul_f64 v[6:7], v[39:40], v[2:3]
	ds_read_b64 v[29:30], v255 offset:848
	v_mul_f64 v[6:7], v[115:116], v[6:7]
	;; [unrolled: 5-line block ×3, first 2 shown]
	s_waitcnt lgkmcnt(0)
	v_fma_f64 v[0:1], v[6:7], v[29:30], v[0:1]
	v_mul_f64 v[6:7], v[19:20], v[2:3]
	v_mul_f64 v[2:3], v[15:16], v[2:3]
	ds_read_b64 v[29:30], v255 offset:864
	v_mul_f64 v[6:7], v[203:204], v[6:7]
	v_mul_f64 v[2:3], v[251:252], v[2:3]
	s_waitcnt lgkmcnt(0)
	v_fma_f64 v[0:1], v[6:7], v[29:30], v[0:1]
	ds_read_b64 v[6:7], v255 offset:872
	s_waitcnt lgkmcnt(0)
	v_fma_f64 v[0:1], v[2:3], v[6:7], v[0:1]
	v_mul_f64 v[2:3], v[4:5], v[8:9]
	ds_read_b64 v[6:7], v255 offset:880
	v_mul_f64 v[2:3], v[97:98], v[2:3]
	v_mul_f64 v[4:5], v[43:44], v[2:3]
	;; [unrolled: 1-line block ×3, first 2 shown]
	s_waitcnt lgkmcnt(0)
	v_fma_f64 v[0:1], v[4:5], v[6:7], v[0:1]
	v_mul_f64 v[4:5], v[39:40], v[2:3]
	ds_read_b64 v[6:7], v255 offset:888
	v_mul_f64 v[4:5], v[115:116], v[4:5]
	s_waitcnt lgkmcnt(0)
	v_fma_f64 v[0:1], v[4:5], v[6:7], v[0:1]
	v_mul_f64 v[4:5], v[25:26], v[2:3]
	ds_read_b64 v[6:7], v255 offset:896
	v_mul_f64 v[4:5], v[111:112], v[4:5]
	s_waitcnt lgkmcnt(0)
	v_fma_f64 v[0:1], v[4:5], v[6:7], v[0:1]
	v_mul_f64 v[4:5], v[19:20], v[2:3]
	v_mul_f64 v[2:3], v[15:16], v[2:3]
	ds_read_b64 v[6:7], v255 offset:904
	v_mul_f64 v[4:5], v[203:204], v[4:5]
	v_mul_f64 v[2:3], v[251:252], v[2:3]
	s_waitcnt lgkmcnt(0)
	v_fma_f64 v[0:1], v[4:5], v[6:7], v[0:1]
	ds_read_b64 v[4:5], v255 offset:912
	ds_read_b64 v[6:7], v255 offset:920
	s_waitcnt lgkmcnt(1)
	v_fma_f64 v[0:1], v[2:3], v[4:5], v[0:1]
	v_mul_f64 v[2:3], v[27:28], v[8:9]
	v_mul_f64 v[2:3], v[107:108], v[2:3]
	;; [unrolled: 1-line block ×4, first 2 shown]
	s_waitcnt lgkmcnt(0)
	v_fma_f64 v[0:1], v[4:5], v[6:7], v[0:1]
	v_mul_f64 v[4:5], v[39:40], v[2:3]
	ds_read_b64 v[6:7], v255 offset:928
	v_mul_f64 v[4:5], v[115:116], v[4:5]
	s_waitcnt lgkmcnt(0)
	v_fma_f64 v[0:1], v[4:5], v[6:7], v[0:1]
	v_mul_f64 v[4:5], v[25:26], v[2:3]
	ds_read_b64 v[6:7], v255 offset:936
	v_mul_f64 v[4:5], v[111:112], v[4:5]
	s_waitcnt lgkmcnt(0)
	v_fma_f64 v[0:1], v[4:5], v[6:7], v[0:1]
	v_mul_f64 v[4:5], v[19:20], v[2:3]
	v_mul_f64 v[2:3], v[15:16], v[2:3]
	ds_read_b64 v[6:7], v255 offset:944
	v_mul_f64 v[4:5], v[203:204], v[4:5]
	v_mul_f64 v[2:3], v[251:252], v[2:3]
	s_waitcnt lgkmcnt(0)
	v_fma_f64 v[0:1], v[4:5], v[6:7], v[0:1]
	ds_read_b64 v[4:5], v255 offset:952
	ds_read_b64 v[6:7], v255 offset:960
	s_waitcnt lgkmcnt(1)
	v_fma_f64 v[0:1], v[2:3], v[4:5], v[0:1]
	v_mul_f64 v[2:3], v[47:48], v[8:9]
	v_mul_f64 v[2:3], v[103:104], v[2:3]
	;; [unrolled: 1-line block ×4, first 2 shown]
	s_waitcnt lgkmcnt(0)
	v_fma_f64 v[0:1], v[4:5], v[6:7], v[0:1]
	v_mul_f64 v[4:5], v[39:40], v[2:3]
	ds_read_b64 v[6:7], v255 offset:968
	v_mul_f64 v[4:5], v[115:116], v[4:5]
	s_waitcnt lgkmcnt(0)
	v_fma_f64 v[0:1], v[4:5], v[6:7], v[0:1]
	v_mul_f64 v[4:5], v[25:26], v[2:3]
	ds_read_b64 v[6:7], v255 offset:976
	v_mul_f64 v[4:5], v[111:112], v[4:5]
	s_waitcnt lgkmcnt(0)
	v_fma_f64 v[0:1], v[4:5], v[6:7], v[0:1]
	v_mul_f64 v[4:5], v[19:20], v[2:3]
	v_mul_f64 v[2:3], v[15:16], v[2:3]
	ds_read_b64 v[6:7], v255 offset:984
	v_mul_f64 v[4:5], v[203:204], v[4:5]
	v_mul_f64 v[2:3], v[251:252], v[2:3]
	s_waitcnt lgkmcnt(0)
	v_fma_f64 v[0:1], v[4:5], v[6:7], v[0:1]
	ds_read_b64 v[4:5], v255 offset:992
	s_waitcnt lgkmcnt(0)
	v_fma_f64 v[2:3], v[2:3], v[4:5], v[0:1]
	v_add_co_u32_e32 v0, vcc, s6, v55
	v_addc_co_u32_e32 v1, vcc, 0, v56, vcc
	global_store_dwordx2 v[0:1], v[2:3], off
	ds_read_b64 v[43:44], v131
	ds_read_b64 v[39:40], v131 offset:32
	ds_read_b64 v[25:26], v131 offset:64
	;; [unrolled: 1-line block ×4, first 2 shown]
	ds_read_b64 v[2:3], v132
	ds_read_b64 v[4:5], v255 offset:1024
	ds_read_b64 v[6:7], v132 offset:32
	ds_read_b64 v[8:9], v255 offset:1056
	ds_read_b64 v[31:32], v132 offset:64
	ds_read_b64 v[33:34], v255 offset:1088
	ds_read_b64 v[27:28], v132 offset:96
	ds_read_b64 v[29:30], v255 offset:1120
	ds_read_b64 v[47:48], v132 offset:128
	ds_read_b64 v[53:54], v255 offset:1152
	ds_read_b64 v[57:58], v36
	ds_read_b64 v[61:62], v36 offset:32
	ds_read_b64 v[67:68], v136
	ds_read_b64 v[71:72], v136 offset:32
	;; [unrolled: 2-line block ×3, first 2 shown]
	ds_read_b64 v[83:84], v255 offset:16
	ds_read_b64 v[87:88], v255 offset:24
	;; [unrolled: 1-line block ×6, first 2 shown]
	s_waitcnt lgkmcnt(9)
	v_mul_f64 v[57:58], v[57:58], v[67:68]
	s_waitcnt lgkmcnt(8)
	v_mul_f64 v[61:62], v[61:62], v[71:72]
	v_mul_f64 v[67:68], v[2:3], v[57:58]
	;; [unrolled: 1-line block ×5, first 2 shown]
	s_waitcnt lgkmcnt(7)
	v_fma_f64 v[73:74], v[75:76], v[73:74], 0
	v_mul_f64 v[75:76], v[39:40], v[67:68]
	v_mul_f64 v[75:76], v[65:66], v[75:76]
	s_waitcnt lgkmcnt(6)
	v_fma_f64 v[73:74], v[79:80], v[75:76], v[73:74]
	v_mul_f64 v[75:76], v[25:26], v[67:68]
	ds_read_b64 v[79:80], v255 offset:64
	v_mul_f64 v[75:76], v[95:96], v[75:76]
	s_waitcnt lgkmcnt(6)
	v_fma_f64 v[73:74], v[83:84], v[75:76], v[73:74]
	v_mul_f64 v[75:76], v[19:20], v[67:68]
	v_mul_f64 v[67:68], v[15:16], v[67:68]
	;; [unrolled: 1-line block ×4, first 2 shown]
	s_waitcnt lgkmcnt(5)
	v_fma_f64 v[73:74], v[87:88], v[75:76], v[73:74]
	s_waitcnt lgkmcnt(4)
	v_fma_f64 v[67:68], v[67:68], v[91:92], v[73:74]
	v_mul_f64 v[73:74], v[6:7], v[57:58]
	v_mul_f64 v[73:74], v[8:9], v[73:74]
	v_mul_f64 v[75:76], v[43:44], v[73:74]
	v_mul_f64 v[75:76], v[69:70], v[75:76]
	s_waitcnt lgkmcnt(3)
	v_fma_f64 v[67:68], v[75:76], v[97:98], v[67:68]
	v_mul_f64 v[75:76], v[39:40], v[73:74]
	v_mul_f64 v[75:76], v[65:66], v[75:76]
	s_waitcnt lgkmcnt(2)
	v_fma_f64 v[67:68], v[75:76], v[103:104], v[67:68]
	v_mul_f64 v[75:76], v[25:26], v[73:74]
	v_mul_f64 v[75:76], v[95:96], v[75:76]
	s_waitcnt lgkmcnt(1)
	v_fma_f64 v[67:68], v[75:76], v[107:108], v[67:68]
	v_mul_f64 v[75:76], v[19:20], v[73:74]
	v_mul_f64 v[73:74], v[15:16], v[73:74]
	v_mul_f64 v[75:76], v[105:106], v[75:76]
	v_mul_f64 v[73:74], v[101:102], v[73:74]
	s_waitcnt lgkmcnt(0)
	v_fma_f64 v[67:68], v[75:76], v[79:80], v[67:68]
	ds_read_b64 v[75:76], v255 offset:72
	ds_read_b64 v[79:80], v255 offset:80
	s_waitcnt lgkmcnt(1)
	v_fma_f64 v[67:68], v[73:74], v[75:76], v[67:68]
	v_mul_f64 v[73:74], v[31:32], v[57:58]
	v_mul_f64 v[73:74], v[33:34], v[73:74]
	;; [unrolled: 1-line block ×4, first 2 shown]
	s_waitcnt lgkmcnt(0)
	v_fma_f64 v[67:68], v[75:76], v[79:80], v[67:68]
	v_mul_f64 v[75:76], v[39:40], v[73:74]
	ds_read_b64 v[79:80], v255 offset:88
	v_mul_f64 v[75:76], v[65:66], v[75:76]
	s_waitcnt lgkmcnt(0)
	v_fma_f64 v[67:68], v[75:76], v[79:80], v[67:68]
	v_mul_f64 v[75:76], v[25:26], v[73:74]
	ds_read_b64 v[79:80], v255 offset:96
	v_mul_f64 v[75:76], v[95:96], v[75:76]
	s_waitcnt lgkmcnt(0)
	v_fma_f64 v[67:68], v[75:76], v[79:80], v[67:68]
	v_mul_f64 v[75:76], v[19:20], v[73:74]
	v_mul_f64 v[73:74], v[15:16], v[73:74]
	ds_read_b64 v[79:80], v255 offset:104
	v_mul_f64 v[75:76], v[105:106], v[75:76]
	v_mul_f64 v[73:74], v[101:102], v[73:74]
	s_waitcnt lgkmcnt(0)
	v_fma_f64 v[67:68], v[75:76], v[79:80], v[67:68]
	ds_read_b64 v[75:76], v255 offset:112
	ds_read_b64 v[79:80], v255 offset:120
	s_waitcnt lgkmcnt(1)
	v_fma_f64 v[67:68], v[73:74], v[75:76], v[67:68]
	v_mul_f64 v[73:74], v[27:28], v[57:58]
	v_mul_f64 v[57:58], v[47:48], v[57:58]
	;; [unrolled: 1-line block ×6, first 2 shown]
	s_waitcnt lgkmcnt(0)
	v_fma_f64 v[67:68], v[75:76], v[79:80], v[67:68]
	v_mul_f64 v[75:76], v[39:40], v[73:74]
	ds_read_b64 v[79:80], v255 offset:128
	v_mul_f64 v[75:76], v[65:66], v[75:76]
	s_waitcnt lgkmcnt(0)
	v_fma_f64 v[67:68], v[75:76], v[79:80], v[67:68]
	v_mul_f64 v[75:76], v[25:26], v[73:74]
	ds_read_b64 v[79:80], v255 offset:136
	v_mul_f64 v[75:76], v[95:96], v[75:76]
	s_waitcnt lgkmcnt(0)
	v_fma_f64 v[67:68], v[75:76], v[79:80], v[67:68]
	v_mul_f64 v[75:76], v[19:20], v[73:74]
	v_mul_f64 v[73:74], v[15:16], v[73:74]
	ds_read_b64 v[79:80], v255 offset:144
	v_mul_f64 v[75:76], v[105:106], v[75:76]
	v_mul_f64 v[73:74], v[101:102], v[73:74]
	s_waitcnt lgkmcnt(0)
	v_fma_f64 v[67:68], v[75:76], v[79:80], v[67:68]
	ds_read_b64 v[75:76], v255 offset:152
	s_waitcnt lgkmcnt(0)
	v_fma_f64 v[67:68], v[73:74], v[75:76], v[67:68]
	v_mul_f64 v[73:74], v[43:44], v[57:58]
	ds_read_b64 v[75:76], v255 offset:160
	v_mul_f64 v[73:74], v[69:70], v[73:74]
	s_waitcnt lgkmcnt(0)
	v_fma_f64 v[67:68], v[73:74], v[75:76], v[67:68]
	v_mul_f64 v[73:74], v[39:40], v[57:58]
	ds_read_b64 v[75:76], v255 offset:168
	v_mul_f64 v[73:74], v[65:66], v[73:74]
	;; [unrolled: 5-line block ×3, first 2 shown]
	s_waitcnt lgkmcnt(0)
	v_fma_f64 v[67:68], v[73:74], v[75:76], v[67:68]
	v_mul_f64 v[73:74], v[19:20], v[57:58]
	v_mul_f64 v[57:58], v[15:16], v[57:58]
	ds_read_b64 v[75:76], v255 offset:184
	v_mul_f64 v[73:74], v[105:106], v[73:74]
	v_mul_f64 v[57:58], v[101:102], v[57:58]
	s_waitcnt lgkmcnt(0)
	v_fma_f64 v[67:68], v[73:74], v[75:76], v[67:68]
	ds_read_b64 v[73:74], v255 offset:192
	s_waitcnt lgkmcnt(0)
	v_fma_f64 v[57:58], v[57:58], v[73:74], v[67:68]
	v_mul_f64 v[67:68], v[2:3], v[61:62]
	ds_read_b64 v[73:74], v255 offset:200
	v_mul_f64 v[67:68], v[4:5], v[67:68]
	v_mul_f64 v[71:72], v[43:44], v[67:68]
	v_mul_f64 v[71:72], v[69:70], v[71:72]
	s_waitcnt lgkmcnt(0)
	v_fma_f64 v[57:58], v[73:74], v[71:72], v[57:58]
	v_mul_f64 v[71:72], v[39:40], v[67:68]
	ds_read_b64 v[73:74], v255 offset:208
	v_mul_f64 v[71:72], v[65:66], v[71:72]
	s_waitcnt lgkmcnt(0)
	v_fma_f64 v[57:58], v[73:74], v[71:72], v[57:58]
	v_mul_f64 v[71:72], v[25:26], v[67:68]
	ds_read_b64 v[73:74], v255 offset:216
	v_mul_f64 v[71:72], v[95:96], v[71:72]
	s_waitcnt lgkmcnt(0)
	v_fma_f64 v[57:58], v[73:74], v[71:72], v[57:58]
	v_mul_f64 v[71:72], v[19:20], v[67:68]
	v_mul_f64 v[67:68], v[15:16], v[67:68]
	ds_read_b64 v[73:74], v255 offset:224
	v_mul_f64 v[71:72], v[105:106], v[71:72]
	v_mul_f64 v[67:68], v[101:102], v[67:68]
	s_waitcnt lgkmcnt(0)
	v_fma_f64 v[57:58], v[73:74], v[71:72], v[57:58]
	ds_read_b64 v[71:72], v255 offset:232
	ds_read_b64 v[73:74], v255 offset:240
	s_waitcnt lgkmcnt(1)
	v_fma_f64 v[57:58], v[67:68], v[71:72], v[57:58]
	v_mul_f64 v[67:68], v[6:7], v[61:62]
	v_mul_f64 v[67:68], v[8:9], v[67:68]
	v_mul_f64 v[71:72], v[43:44], v[67:68]
	v_mul_f64 v[71:72], v[69:70], v[71:72]
	s_waitcnt lgkmcnt(0)
	v_fma_f64 v[57:58], v[71:72], v[73:74], v[57:58]
	v_mul_f64 v[71:72], v[39:40], v[67:68]
	ds_read_b64 v[73:74], v255 offset:248
	v_mul_f64 v[71:72], v[65:66], v[71:72]
	s_waitcnt lgkmcnt(0)
	v_fma_f64 v[57:58], v[71:72], v[73:74], v[57:58]
	v_mul_f64 v[71:72], v[25:26], v[67:68]
	ds_read_b64 v[73:74], v255 offset:256
	v_mul_f64 v[71:72], v[95:96], v[71:72]
	s_waitcnt lgkmcnt(0)
	v_fma_f64 v[57:58], v[71:72], v[73:74], v[57:58]
	v_mul_f64 v[71:72], v[19:20], v[67:68]
	v_mul_f64 v[67:68], v[15:16], v[67:68]
	ds_read_b64 v[73:74], v255 offset:264
	v_mul_f64 v[71:72], v[105:106], v[71:72]
	v_mul_f64 v[67:68], v[101:102], v[67:68]
	s_waitcnt lgkmcnt(0)
	v_fma_f64 v[57:58], v[71:72], v[73:74], v[57:58]
	ds_read_b64 v[71:72], v255 offset:272
	ds_read_b64 v[73:74], v255 offset:280
	s_waitcnt lgkmcnt(1)
	v_fma_f64 v[57:58], v[67:68], v[71:72], v[57:58]
	v_mul_f64 v[67:68], v[31:32], v[61:62]
	;; [unrolled: 27-line block ×3, first 2 shown]
	v_mul_f64 v[61:62], v[47:48], v[61:62]
	v_mul_f64 v[67:68], v[29:30], v[67:68]
	;; [unrolled: 1-line block ×5, first 2 shown]
	s_waitcnt lgkmcnt(0)
	v_fma_f64 v[57:58], v[71:72], v[73:74], v[57:58]
	v_mul_f64 v[71:72], v[39:40], v[67:68]
	ds_read_b64 v[73:74], v255 offset:328
	v_mul_f64 v[71:72], v[65:66], v[71:72]
	s_waitcnt lgkmcnt(0)
	v_fma_f64 v[57:58], v[71:72], v[73:74], v[57:58]
	v_mul_f64 v[71:72], v[25:26], v[67:68]
	ds_read_b64 v[73:74], v255 offset:336
	v_mul_f64 v[71:72], v[95:96], v[71:72]
	s_waitcnt lgkmcnt(0)
	v_fma_f64 v[57:58], v[71:72], v[73:74], v[57:58]
	v_mul_f64 v[71:72], v[19:20], v[67:68]
	v_mul_f64 v[67:68], v[15:16], v[67:68]
	ds_read_b64 v[73:74], v255 offset:344
	v_mul_f64 v[71:72], v[105:106], v[71:72]
	v_mul_f64 v[67:68], v[101:102], v[67:68]
	s_waitcnt lgkmcnt(0)
	v_fma_f64 v[57:58], v[71:72], v[73:74], v[57:58]
	ds_read_b64 v[71:72], v255 offset:352
	s_waitcnt lgkmcnt(0)
	v_fma_f64 v[57:58], v[67:68], v[71:72], v[57:58]
	v_mul_f64 v[67:68], v[43:44], v[61:62]
	ds_read_b64 v[71:72], v255 offset:360
	v_mul_f64 v[67:68], v[69:70], v[67:68]
	s_waitcnt lgkmcnt(0)
	v_fma_f64 v[57:58], v[67:68], v[71:72], v[57:58]
	v_mul_f64 v[67:68], v[39:40], v[61:62]
	ds_read_b64 v[71:72], v255 offset:368
	v_mul_f64 v[67:68], v[65:66], v[67:68]
	s_waitcnt lgkmcnt(0)
	v_fma_f64 v[57:58], v[67:68], v[71:72], v[57:58]
	v_mul_f64 v[67:68], v[25:26], v[61:62]
	ds_read_b64 v[71:72], v255 offset:376
	v_mul_f64 v[67:68], v[95:96], v[67:68]
	s_waitcnt lgkmcnt(0)
	v_fma_f64 v[57:58], v[67:68], v[71:72], v[57:58]
	v_mul_f64 v[67:68], v[19:20], v[61:62]
	v_mul_f64 v[61:62], v[15:16], v[61:62]
	ds_read_b64 v[71:72], v255 offset:384
	v_mul_f64 v[67:68], v[105:106], v[67:68]
	v_mul_f64 v[61:62], v[101:102], v[61:62]
	s_waitcnt lgkmcnt(0)
	v_fma_f64 v[57:58], v[67:68], v[71:72], v[57:58]
	ds_read_b64 v[67:68], v255 offset:392
	s_waitcnt lgkmcnt(0)
	v_fma_f64 v[57:58], v[61:62], v[67:68], v[57:58]
	ds_read_b64 v[61:62], v36 offset:64
	ds_read_b64 v[67:68], v136 offset:64
	;; [unrolled: 1-line block ×3, first 2 shown]
	s_waitcnt lgkmcnt(1)
	v_mul_f64 v[61:62], v[61:62], v[67:68]
	v_mul_f64 v[67:68], v[2:3], v[61:62]
	v_mul_f64 v[67:68], v[4:5], v[67:68]
	v_mul_f64 v[71:72], v[43:44], v[67:68]
	v_mul_f64 v[71:72], v[69:70], v[71:72]
	s_waitcnt lgkmcnt(0)
	v_fma_f64 v[57:58], v[73:74], v[71:72], v[57:58]
	v_mul_f64 v[71:72], v[39:40], v[67:68]
	ds_read_b64 v[73:74], v255 offset:408
	v_mul_f64 v[71:72], v[65:66], v[71:72]
	s_waitcnt lgkmcnt(0)
	v_fma_f64 v[57:58], v[73:74], v[71:72], v[57:58]
	v_mul_f64 v[71:72], v[25:26], v[67:68]
	ds_read_b64 v[73:74], v255 offset:416
	v_mul_f64 v[71:72], v[95:96], v[71:72]
	s_waitcnt lgkmcnt(0)
	v_fma_f64 v[57:58], v[73:74], v[71:72], v[57:58]
	v_mul_f64 v[71:72], v[19:20], v[67:68]
	v_mul_f64 v[67:68], v[15:16], v[67:68]
	ds_read_b64 v[73:74], v255 offset:424
	v_mul_f64 v[71:72], v[105:106], v[71:72]
	v_mul_f64 v[67:68], v[101:102], v[67:68]
	s_waitcnt lgkmcnt(0)
	v_fma_f64 v[57:58], v[73:74], v[71:72], v[57:58]
	ds_read_b64 v[71:72], v255 offset:432
	ds_read_b64 v[73:74], v255 offset:440
	s_waitcnt lgkmcnt(1)
	v_fma_f64 v[57:58], v[67:68], v[71:72], v[57:58]
	v_mul_f64 v[67:68], v[6:7], v[61:62]
	v_mul_f64 v[67:68], v[8:9], v[67:68]
	v_mul_f64 v[71:72], v[43:44], v[67:68]
	v_mul_f64 v[71:72], v[69:70], v[71:72]
	s_waitcnt lgkmcnt(0)
	v_fma_f64 v[57:58], v[71:72], v[73:74], v[57:58]
	v_mul_f64 v[71:72], v[39:40], v[67:68]
	ds_read_b64 v[73:74], v255 offset:448
	v_mul_f64 v[71:72], v[65:66], v[71:72]
	s_waitcnt lgkmcnt(0)
	v_fma_f64 v[57:58], v[71:72], v[73:74], v[57:58]
	v_mul_f64 v[71:72], v[25:26], v[67:68]
	ds_read_b64 v[73:74], v255 offset:456
	v_mul_f64 v[71:72], v[95:96], v[71:72]
	s_waitcnt lgkmcnt(0)
	v_fma_f64 v[57:58], v[71:72], v[73:74], v[57:58]
	v_mul_f64 v[71:72], v[19:20], v[67:68]
	v_mul_f64 v[67:68], v[15:16], v[67:68]
	ds_read_b64 v[73:74], v255 offset:464
	v_mul_f64 v[71:72], v[105:106], v[71:72]
	v_mul_f64 v[67:68], v[101:102], v[67:68]
	s_waitcnt lgkmcnt(0)
	v_fma_f64 v[57:58], v[71:72], v[73:74], v[57:58]
	ds_read_b64 v[71:72], v255 offset:472
	ds_read_b64 v[73:74], v255 offset:480
	s_waitcnt lgkmcnt(1)
	v_fma_f64 v[57:58], v[67:68], v[71:72], v[57:58]
	v_mul_f64 v[67:68], v[31:32], v[61:62]
	v_mul_f64 v[67:68], v[33:34], v[67:68]
	v_mul_f64 v[71:72], v[43:44], v[67:68]
	v_mul_f64 v[71:72], v[69:70], v[71:72]
	;; [unrolled: 27-line block ×3, first 2 shown]
	v_mul_f64 v[71:72], v[43:44], v[67:68]
	v_mul_f64 v[71:72], v[69:70], v[71:72]
	s_waitcnt lgkmcnt(0)
	v_fma_f64 v[57:58], v[71:72], v[73:74], v[57:58]
	v_mul_f64 v[71:72], v[39:40], v[67:68]
	ds_read_b64 v[73:74], v255 offset:528
	v_mul_f64 v[71:72], v[65:66], v[71:72]
	s_waitcnt lgkmcnt(0)
	v_fma_f64 v[57:58], v[71:72], v[73:74], v[57:58]
	v_mul_f64 v[71:72], v[25:26], v[67:68]
	ds_read_b64 v[73:74], v255 offset:536
	v_mul_f64 v[71:72], v[95:96], v[71:72]
	s_waitcnt lgkmcnt(0)
	v_fma_f64 v[57:58], v[71:72], v[73:74], v[57:58]
	v_mul_f64 v[71:72], v[19:20], v[67:68]
	v_mul_f64 v[67:68], v[15:16], v[67:68]
	ds_read_b64 v[73:74], v255 offset:544
	v_mul_f64 v[71:72], v[105:106], v[71:72]
	v_mul_f64 v[67:68], v[101:102], v[67:68]
	s_waitcnt lgkmcnt(0)
	v_fma_f64 v[57:58], v[71:72], v[73:74], v[57:58]
	ds_read_b64 v[71:72], v255 offset:552
	s_waitcnt lgkmcnt(0)
	v_fma_f64 v[57:58], v[67:68], v[71:72], v[57:58]
	v_mul_f64 v[67:68], v[43:44], v[61:62]
	ds_read_b64 v[71:72], v255 offset:560
	v_mul_f64 v[67:68], v[69:70], v[67:68]
	s_waitcnt lgkmcnt(0)
	v_fma_f64 v[57:58], v[67:68], v[71:72], v[57:58]
	v_mul_f64 v[67:68], v[39:40], v[61:62]
	ds_read_b64 v[71:72], v255 offset:568
	v_mul_f64 v[67:68], v[65:66], v[67:68]
	;; [unrolled: 5-line block ×3, first 2 shown]
	s_waitcnt lgkmcnt(0)
	v_fma_f64 v[57:58], v[67:68], v[71:72], v[57:58]
	v_mul_f64 v[67:68], v[19:20], v[61:62]
	v_mul_f64 v[61:62], v[15:16], v[61:62]
	ds_read_b64 v[71:72], v255 offset:584
	v_mul_f64 v[67:68], v[105:106], v[67:68]
	v_mul_f64 v[61:62], v[101:102], v[61:62]
	s_waitcnt lgkmcnt(0)
	v_fma_f64 v[57:58], v[67:68], v[71:72], v[57:58]
	ds_read_b64 v[67:68], v255 offset:592
	s_waitcnt lgkmcnt(0)
	v_fma_f64 v[57:58], v[61:62], v[67:68], v[57:58]
	ds_read_b64 v[61:62], v36 offset:96
	ds_read_b64 v[67:68], v136 offset:96
	;; [unrolled: 1-line block ×3, first 2 shown]
	s_waitcnt lgkmcnt(1)
	v_mul_f64 v[61:62], v[61:62], v[67:68]
	v_mul_f64 v[67:68], v[2:3], v[61:62]
	;; [unrolled: 1-line block ×5, first 2 shown]
	s_waitcnt lgkmcnt(0)
	v_fma_f64 v[57:58], v[73:74], v[71:72], v[57:58]
	v_mul_f64 v[71:72], v[39:40], v[67:68]
	ds_read_b64 v[73:74], v255 offset:608
	v_mul_f64 v[71:72], v[65:66], v[71:72]
	s_waitcnt lgkmcnt(0)
	v_fma_f64 v[57:58], v[73:74], v[71:72], v[57:58]
	v_mul_f64 v[71:72], v[25:26], v[67:68]
	ds_read_b64 v[73:74], v255 offset:616
	v_mul_f64 v[71:72], v[95:96], v[71:72]
	s_waitcnt lgkmcnt(0)
	v_fma_f64 v[57:58], v[73:74], v[71:72], v[57:58]
	v_mul_f64 v[71:72], v[19:20], v[67:68]
	v_mul_f64 v[67:68], v[15:16], v[67:68]
	ds_read_b64 v[73:74], v255 offset:624
	v_mul_f64 v[71:72], v[105:106], v[71:72]
	v_mul_f64 v[67:68], v[101:102], v[67:68]
	s_waitcnt lgkmcnt(0)
	v_fma_f64 v[57:58], v[73:74], v[71:72], v[57:58]
	ds_read_b64 v[71:72], v255 offset:632
	ds_read_b64 v[73:74], v255 offset:640
	s_waitcnt lgkmcnt(1)
	v_fma_f64 v[57:58], v[67:68], v[71:72], v[57:58]
	v_mul_f64 v[67:68], v[6:7], v[61:62]
	v_mul_f64 v[67:68], v[8:9], v[67:68]
	v_mul_f64 v[71:72], v[43:44], v[67:68]
	v_mul_f64 v[71:72], v[69:70], v[71:72]
	s_waitcnt lgkmcnt(0)
	v_fma_f64 v[57:58], v[71:72], v[73:74], v[57:58]
	v_mul_f64 v[71:72], v[39:40], v[67:68]
	ds_read_b64 v[73:74], v255 offset:648
	v_mul_f64 v[71:72], v[65:66], v[71:72]
	s_waitcnt lgkmcnt(0)
	v_fma_f64 v[57:58], v[71:72], v[73:74], v[57:58]
	v_mul_f64 v[71:72], v[25:26], v[67:68]
	ds_read_b64 v[73:74], v255 offset:656
	v_mul_f64 v[71:72], v[95:96], v[71:72]
	s_waitcnt lgkmcnt(0)
	v_fma_f64 v[57:58], v[71:72], v[73:74], v[57:58]
	v_mul_f64 v[71:72], v[19:20], v[67:68]
	v_mul_f64 v[67:68], v[15:16], v[67:68]
	ds_read_b64 v[73:74], v255 offset:664
	v_mul_f64 v[71:72], v[105:106], v[71:72]
	v_mul_f64 v[67:68], v[101:102], v[67:68]
	s_waitcnt lgkmcnt(0)
	v_fma_f64 v[57:58], v[71:72], v[73:74], v[57:58]
	ds_read_b64 v[71:72], v255 offset:672
	ds_read_b64 v[73:74], v255 offset:680
	s_waitcnt lgkmcnt(1)
	v_fma_f64 v[57:58], v[67:68], v[71:72], v[57:58]
	v_mul_f64 v[67:68], v[31:32], v[61:62]
	v_mul_f64 v[67:68], v[33:34], v[67:68]
	v_mul_f64 v[71:72], v[43:44], v[67:68]
	v_mul_f64 v[71:72], v[69:70], v[71:72]
	;; [unrolled: 27-line block ×3, first 2 shown]
	v_mul_f64 v[71:72], v[43:44], v[67:68]
	v_mul_f64 v[71:72], v[69:70], v[71:72]
	s_waitcnt lgkmcnt(0)
	v_fma_f64 v[57:58], v[71:72], v[73:74], v[57:58]
	v_mul_f64 v[71:72], v[39:40], v[67:68]
	ds_read_b64 v[73:74], v255 offset:728
	v_mul_f64 v[71:72], v[65:66], v[71:72]
	s_waitcnt lgkmcnt(0)
	v_fma_f64 v[57:58], v[71:72], v[73:74], v[57:58]
	v_mul_f64 v[71:72], v[25:26], v[67:68]
	ds_read_b64 v[73:74], v255 offset:736
	v_mul_f64 v[71:72], v[95:96], v[71:72]
	s_waitcnt lgkmcnt(0)
	v_fma_f64 v[57:58], v[71:72], v[73:74], v[57:58]
	v_mul_f64 v[71:72], v[19:20], v[67:68]
	v_mul_f64 v[67:68], v[15:16], v[67:68]
	ds_read_b64 v[73:74], v255 offset:744
	v_mul_f64 v[71:72], v[105:106], v[71:72]
	v_mul_f64 v[67:68], v[101:102], v[67:68]
	s_waitcnt lgkmcnt(0)
	v_fma_f64 v[57:58], v[71:72], v[73:74], v[57:58]
	ds_read_b64 v[71:72], v255 offset:752
	s_waitcnt lgkmcnt(0)
	v_fma_f64 v[57:58], v[67:68], v[71:72], v[57:58]
	v_mul_f64 v[67:68], v[43:44], v[61:62]
	ds_read_b64 v[71:72], v255 offset:760
	v_mul_f64 v[67:68], v[69:70], v[67:68]
	s_waitcnt lgkmcnt(0)
	v_fma_f64 v[57:58], v[67:68], v[71:72], v[57:58]
	v_mul_f64 v[67:68], v[39:40], v[61:62]
	ds_read_b64 v[71:72], v255 offset:768
	v_mul_f64 v[67:68], v[65:66], v[67:68]
	;; [unrolled: 5-line block ×3, first 2 shown]
	s_waitcnt lgkmcnt(0)
	v_fma_f64 v[57:58], v[67:68], v[71:72], v[57:58]
	v_mul_f64 v[67:68], v[19:20], v[61:62]
	v_mul_f64 v[61:62], v[15:16], v[61:62]
	ds_read_b64 v[71:72], v255 offset:784
	v_mul_f64 v[67:68], v[105:106], v[67:68]
	v_mul_f64 v[61:62], v[101:102], v[61:62]
	s_waitcnt lgkmcnt(0)
	v_fma_f64 v[57:58], v[67:68], v[71:72], v[57:58]
	ds_read_b64 v[67:68], v255 offset:792
	s_waitcnt lgkmcnt(0)
	v_fma_f64 v[57:58], v[61:62], v[67:68], v[57:58]
	ds_read_b64 v[61:62], v36 offset:128
	ds_read_b64 v[67:68], v136 offset:128
	s_waitcnt lgkmcnt(0)
	v_mul_f64 v[61:62], v[61:62], v[67:68]
	ds_read_b64 v[67:68], v255 offset:800
	v_mul_f64 v[2:3], v[2:3], v[61:62]
	v_mul_f64 v[2:3], v[4:5], v[2:3]
	;; [unrolled: 1-line block ×4, first 2 shown]
	s_waitcnt lgkmcnt(0)
	v_fma_f64 v[4:5], v[67:68], v[4:5], v[57:58]
	v_mul_f64 v[57:58], v[39:40], v[2:3]
	ds_read_b64 v[67:68], v255 offset:808
	v_mul_f64 v[57:58], v[65:66], v[57:58]
	s_waitcnt lgkmcnt(0)
	v_fma_f64 v[4:5], v[67:68], v[57:58], v[4:5]
	v_mul_f64 v[57:58], v[25:26], v[2:3]
	ds_read_b64 v[67:68], v255 offset:816
	v_mul_f64 v[57:58], v[95:96], v[57:58]
	s_waitcnt lgkmcnt(0)
	v_fma_f64 v[4:5], v[67:68], v[57:58], v[4:5]
	v_mul_f64 v[57:58], v[19:20], v[2:3]
	v_mul_f64 v[2:3], v[15:16], v[2:3]
	ds_read_b64 v[67:68], v255 offset:824
	v_mul_f64 v[57:58], v[105:106], v[57:58]
	v_mul_f64 v[2:3], v[101:102], v[2:3]
	s_waitcnt lgkmcnt(0)
	v_fma_f64 v[4:5], v[67:68], v[57:58], v[4:5]
	ds_read_b64 v[57:58], v255 offset:832
	s_waitcnt lgkmcnt(0)
	v_fma_f64 v[2:3], v[2:3], v[57:58], v[4:5]
	v_mul_f64 v[4:5], v[6:7], v[61:62]
	v_mul_f64 v[4:5], v[8:9], v[4:5]
	ds_read_b64 v[8:9], v255 offset:840
	v_mul_f64 v[6:7], v[43:44], v[4:5]
	v_mul_f64 v[6:7], v[69:70], v[6:7]
	s_waitcnt lgkmcnt(0)
	v_fma_f64 v[2:3], v[6:7], v[8:9], v[2:3]
	v_mul_f64 v[6:7], v[39:40], v[4:5]
	ds_read_b64 v[8:9], v255 offset:848
	v_mul_f64 v[6:7], v[65:66], v[6:7]
	s_waitcnt lgkmcnt(0)
	v_fma_f64 v[2:3], v[6:7], v[8:9], v[2:3]
	v_mul_f64 v[6:7], v[25:26], v[4:5]
	ds_read_b64 v[8:9], v255 offset:856
	v_mul_f64 v[6:7], v[95:96], v[6:7]
	s_waitcnt lgkmcnt(0)
	v_fma_f64 v[2:3], v[6:7], v[8:9], v[2:3]
	v_mul_f64 v[6:7], v[19:20], v[4:5]
	v_mul_f64 v[4:5], v[15:16], v[4:5]
	ds_read_b64 v[8:9], v255 offset:864
	v_mul_f64 v[6:7], v[105:106], v[6:7]
	v_mul_f64 v[4:5], v[101:102], v[4:5]
	s_waitcnt lgkmcnt(0)
	v_fma_f64 v[2:3], v[6:7], v[8:9], v[2:3]
	ds_read_b64 v[6:7], v255 offset:872
	ds_read_b64 v[8:9], v255 offset:880
	s_waitcnt lgkmcnt(1)
	v_fma_f64 v[2:3], v[4:5], v[6:7], v[2:3]
	v_mul_f64 v[4:5], v[31:32], v[61:62]
	v_mul_f64 v[4:5], v[33:34], v[4:5]
	v_mul_f64 v[6:7], v[43:44], v[4:5]
	v_mul_f64 v[6:7], v[69:70], v[6:7]
	s_waitcnt lgkmcnt(0)
	v_fma_f64 v[2:3], v[6:7], v[8:9], v[2:3]
	v_mul_f64 v[6:7], v[39:40], v[4:5]
	ds_read_b64 v[8:9], v255 offset:888
	v_mul_f64 v[6:7], v[65:66], v[6:7]
	s_waitcnt lgkmcnt(0)
	v_fma_f64 v[2:3], v[6:7], v[8:9], v[2:3]
	v_mul_f64 v[6:7], v[25:26], v[4:5]
	ds_read_b64 v[8:9], v255 offset:896
	v_mul_f64 v[6:7], v[95:96], v[6:7]
	s_waitcnt lgkmcnt(0)
	v_fma_f64 v[2:3], v[6:7], v[8:9], v[2:3]
	v_mul_f64 v[6:7], v[19:20], v[4:5]
	v_mul_f64 v[4:5], v[15:16], v[4:5]
	ds_read_b64 v[8:9], v255 offset:904
	v_mul_f64 v[6:7], v[105:106], v[6:7]
	v_mul_f64 v[4:5], v[101:102], v[4:5]
	s_waitcnt lgkmcnt(0)
	v_fma_f64 v[2:3], v[6:7], v[8:9], v[2:3]
	ds_read_b64 v[6:7], v255 offset:912
	ds_read_b64 v[8:9], v255 offset:920
	s_waitcnt lgkmcnt(1)
	v_fma_f64 v[2:3], v[4:5], v[6:7], v[2:3]
	v_mul_f64 v[4:5], v[27:28], v[61:62]
	v_mul_f64 v[4:5], v[29:30], v[4:5]
	;; [unrolled: 27-line block ×3, first 2 shown]
	v_mul_f64 v[6:7], v[43:44], v[4:5]
	v_mul_f64 v[6:7], v[69:70], v[6:7]
	s_waitcnt lgkmcnt(0)
	v_fma_f64 v[2:3], v[6:7], v[8:9], v[2:3]
	v_mul_f64 v[6:7], v[39:40], v[4:5]
	ds_read_b64 v[8:9], v255 offset:968
	v_mul_f64 v[6:7], v[65:66], v[6:7]
	s_waitcnt lgkmcnt(0)
	v_fma_f64 v[2:3], v[6:7], v[8:9], v[2:3]
	v_mul_f64 v[6:7], v[25:26], v[4:5]
	ds_read_b64 v[8:9], v255 offset:976
	v_mul_f64 v[6:7], v[95:96], v[6:7]
	s_waitcnt lgkmcnt(0)
	v_fma_f64 v[2:3], v[6:7], v[8:9], v[2:3]
	v_mul_f64 v[6:7], v[19:20], v[4:5]
	ds_read_b64 v[8:9], v255 offset:984
	v_mul_f64 v[4:5], v[15:16], v[4:5]
	v_mul_f64 v[6:7], v[105:106], v[6:7]
	;; [unrolled: 1-line block ×3, first 2 shown]
	s_waitcnt lgkmcnt(0)
	v_fma_f64 v[2:3], v[6:7], v[8:9], v[2:3]
	ds_read_b64 v[6:7], v255 offset:992
	buffer_load_dword v111, off, s[24:27], 0 offset:2804 ; 4-byte Folded Reload
	buffer_load_dword v112, off, s[24:27], 0 offset:2808 ; 4-byte Folded Reload
	s_waitcnt lgkmcnt(0)
	v_fma_f64 v[2:3], v[4:5], v[6:7], v[2:3]
	s_waitcnt vmcnt(0)
	global_store_dwordx2 v[111:112], v[2:3], off
	ds_read_b64 v[61:62], v131
	ds_read_b64 v[65:66], v255 offset:1024
	ds_read_b64 v[53:54], v131 offset:32
	;; [unrolled: 1-line block ×9, first 2 shown]
	ds_read_b64 v[4:5], v132
	ds_read_b64 v[6:7], v132 offset:32
	ds_read_b64 v[8:9], v132 offset:64
	;; [unrolled: 1-line block ×4, first 2 shown]
	ds_read_b64 v[27:28], v36
	ds_read_b64 v[29:30], v36 offset:32
	ds_read_b64 v[31:32], v136
	ds_read_b64 v[33:34], v136 offset:32
	;; [unrolled: 2-line block ×3, first 2 shown]
	ds_read_b64 v[75:76], v255 offset:16
	ds_read_b64 v[79:80], v255 offset:24
	;; [unrolled: 1-line block ×6, first 2 shown]
	s_waitcnt lgkmcnt(9)
	v_mul_f64 v[27:28], v[27:28], v[31:32]
	s_waitcnt lgkmcnt(8)
	v_mul_f64 v[29:30], v[29:30], v[33:34]
	v_mul_f64 v[31:32], v[4:5], v[27:28]
	;; [unrolled: 1-line block ×5, first 2 shown]
	s_waitcnt lgkmcnt(7)
	v_fma_f64 v[69:70], v[71:72], v[69:70], 0
	v_mul_f64 v[71:72], v[53:54], v[31:32]
	v_mul_f64 v[71:72], v[57:58], v[71:72]
	s_waitcnt lgkmcnt(6)
	v_fma_f64 v[69:70], v[73:74], v[71:72], v[69:70]
	v_mul_f64 v[71:72], v[43:44], v[31:32]
	ds_read_b64 v[73:74], v255 offset:64
	v_mul_f64 v[71:72], v[47:48], v[71:72]
	s_waitcnt lgkmcnt(6)
	v_fma_f64 v[69:70], v[75:76], v[71:72], v[69:70]
	v_mul_f64 v[71:72], v[25:26], v[31:32]
	v_mul_f64 v[31:32], v[15:16], v[31:32]
	;; [unrolled: 1-line block ×4, first 2 shown]
	s_waitcnt lgkmcnt(5)
	v_fma_f64 v[69:70], v[79:80], v[71:72], v[69:70]
	s_waitcnt lgkmcnt(4)
	v_fma_f64 v[31:32], v[31:32], v[83:84], v[69:70]
	v_mul_f64 v[69:70], v[6:7], v[27:28]
	v_mul_f64 v[69:70], v[57:58], v[69:70]
	v_mul_f64 v[71:72], v[61:62], v[69:70]
	v_mul_f64 v[71:72], v[65:66], v[71:72]
	s_waitcnt lgkmcnt(3)
	v_fma_f64 v[31:32], v[71:72], v[87:88], v[31:32]
	v_mul_f64 v[71:72], v[53:54], v[69:70]
	v_mul_f64 v[71:72], v[57:58], v[71:72]
	s_waitcnt lgkmcnt(2)
	v_fma_f64 v[31:32], v[71:72], v[91:92], v[31:32]
	v_mul_f64 v[71:72], v[43:44], v[69:70]
	v_mul_f64 v[71:72], v[47:48], v[71:72]
	;; [unrolled: 4-line block ×3, first 2 shown]
	v_mul_f64 v[71:72], v[39:40], v[71:72]
	v_mul_f64 v[69:70], v[19:20], v[69:70]
	s_waitcnt lgkmcnt(0)
	v_fma_f64 v[31:32], v[71:72], v[73:74], v[31:32]
	ds_read_b64 v[71:72], v255 offset:72
	ds_read_b64 v[73:74], v255 offset:80
	s_waitcnt lgkmcnt(1)
	v_fma_f64 v[31:32], v[69:70], v[71:72], v[31:32]
	v_mul_f64 v[69:70], v[8:9], v[27:28]
	v_mul_f64 v[69:70], v[47:48], v[69:70]
	;; [unrolled: 1-line block ×4, first 2 shown]
	s_waitcnt lgkmcnt(0)
	v_fma_f64 v[31:32], v[71:72], v[73:74], v[31:32]
	v_mul_f64 v[71:72], v[53:54], v[69:70]
	ds_read_b64 v[73:74], v255 offset:88
	v_mul_f64 v[71:72], v[57:58], v[71:72]
	s_waitcnt lgkmcnt(0)
	v_fma_f64 v[31:32], v[71:72], v[73:74], v[31:32]
	v_mul_f64 v[71:72], v[43:44], v[69:70]
	ds_read_b64 v[73:74], v255 offset:96
	v_mul_f64 v[71:72], v[47:48], v[71:72]
	s_waitcnt lgkmcnt(0)
	v_fma_f64 v[31:32], v[71:72], v[73:74], v[31:32]
	v_mul_f64 v[71:72], v[25:26], v[69:70]
	v_mul_f64 v[69:70], v[15:16], v[69:70]
	ds_read_b64 v[73:74], v255 offset:104
	v_mul_f64 v[71:72], v[39:40], v[71:72]
	v_mul_f64 v[69:70], v[19:20], v[69:70]
	s_waitcnt lgkmcnt(0)
	v_fma_f64 v[31:32], v[71:72], v[73:74], v[31:32]
	ds_read_b64 v[71:72], v255 offset:112
	ds_read_b64 v[73:74], v255 offset:120
	s_waitcnt lgkmcnt(1)
	v_fma_f64 v[31:32], v[69:70], v[71:72], v[31:32]
	v_mul_f64 v[69:70], v[2:3], v[27:28]
	v_mul_f64 v[27:28], v[67:68], v[27:28]
	;; [unrolled: 1-line block ×6, first 2 shown]
	s_waitcnt lgkmcnt(0)
	v_fma_f64 v[31:32], v[71:72], v[73:74], v[31:32]
	v_mul_f64 v[71:72], v[53:54], v[69:70]
	ds_read_b64 v[73:74], v255 offset:128
	v_mul_f64 v[71:72], v[57:58], v[71:72]
	s_waitcnt lgkmcnt(0)
	v_fma_f64 v[31:32], v[71:72], v[73:74], v[31:32]
	v_mul_f64 v[71:72], v[43:44], v[69:70]
	ds_read_b64 v[73:74], v255 offset:136
	v_mul_f64 v[71:72], v[47:48], v[71:72]
	s_waitcnt lgkmcnt(0)
	v_fma_f64 v[31:32], v[71:72], v[73:74], v[31:32]
	v_mul_f64 v[71:72], v[25:26], v[69:70]
	v_mul_f64 v[69:70], v[15:16], v[69:70]
	ds_read_b64 v[73:74], v255 offset:144
	v_mul_f64 v[71:72], v[39:40], v[71:72]
	v_mul_f64 v[69:70], v[19:20], v[69:70]
	s_waitcnt lgkmcnt(0)
	v_fma_f64 v[31:32], v[71:72], v[73:74], v[31:32]
	ds_read_b64 v[71:72], v255 offset:152
	s_waitcnt lgkmcnt(0)
	v_fma_f64 v[31:32], v[69:70], v[71:72], v[31:32]
	v_mul_f64 v[69:70], v[61:62], v[27:28]
	ds_read_b64 v[71:72], v255 offset:160
	v_mul_f64 v[69:70], v[65:66], v[69:70]
	s_waitcnt lgkmcnt(0)
	v_fma_f64 v[31:32], v[69:70], v[71:72], v[31:32]
	v_mul_f64 v[69:70], v[53:54], v[27:28]
	ds_read_b64 v[71:72], v255 offset:168
	v_mul_f64 v[69:70], v[57:58], v[69:70]
	;; [unrolled: 5-line block ×3, first 2 shown]
	s_waitcnt lgkmcnt(0)
	v_fma_f64 v[31:32], v[69:70], v[71:72], v[31:32]
	v_mul_f64 v[69:70], v[25:26], v[27:28]
	v_mul_f64 v[27:28], v[15:16], v[27:28]
	ds_read_b64 v[71:72], v255 offset:184
	v_mul_f64 v[69:70], v[39:40], v[69:70]
	v_mul_f64 v[27:28], v[19:20], v[27:28]
	s_waitcnt lgkmcnt(0)
	v_fma_f64 v[31:32], v[69:70], v[71:72], v[31:32]
	ds_read_b64 v[69:70], v255 offset:192
	s_waitcnt lgkmcnt(0)
	v_fma_f64 v[27:28], v[27:28], v[69:70], v[31:32]
	v_mul_f64 v[31:32], v[4:5], v[29:30]
	ds_read_b64 v[69:70], v255 offset:200
	v_mul_f64 v[31:32], v[65:66], v[31:32]
	v_mul_f64 v[33:34], v[61:62], v[31:32]
	v_mul_f64 v[33:34], v[65:66], v[33:34]
	s_waitcnt lgkmcnt(0)
	v_fma_f64 v[27:28], v[69:70], v[33:34], v[27:28]
	v_mul_f64 v[33:34], v[53:54], v[31:32]
	ds_read_b64 v[69:70], v255 offset:208
	v_mul_f64 v[33:34], v[57:58], v[33:34]
	s_waitcnt lgkmcnt(0)
	v_fma_f64 v[27:28], v[69:70], v[33:34], v[27:28]
	v_mul_f64 v[33:34], v[43:44], v[31:32]
	ds_read_b64 v[69:70], v255 offset:216
	v_mul_f64 v[33:34], v[47:48], v[33:34]
	s_waitcnt lgkmcnt(0)
	v_fma_f64 v[27:28], v[69:70], v[33:34], v[27:28]
	v_mul_f64 v[33:34], v[25:26], v[31:32]
	v_mul_f64 v[31:32], v[15:16], v[31:32]
	ds_read_b64 v[69:70], v255 offset:224
	v_mul_f64 v[33:34], v[39:40], v[33:34]
	v_mul_f64 v[31:32], v[19:20], v[31:32]
	s_waitcnt lgkmcnt(0)
	v_fma_f64 v[27:28], v[69:70], v[33:34], v[27:28]
	ds_read_b64 v[33:34], v255 offset:232
	ds_read_b64 v[69:70], v255 offset:240
	s_waitcnt lgkmcnt(1)
	v_fma_f64 v[27:28], v[31:32], v[33:34], v[27:28]
	v_mul_f64 v[31:32], v[6:7], v[29:30]
	v_mul_f64 v[31:32], v[57:58], v[31:32]
	v_mul_f64 v[33:34], v[61:62], v[31:32]
	v_mul_f64 v[33:34], v[65:66], v[33:34]
	s_waitcnt lgkmcnt(0)
	v_fma_f64 v[27:28], v[33:34], v[69:70], v[27:28]
	v_mul_f64 v[33:34], v[53:54], v[31:32]
	ds_read_b64 v[69:70], v255 offset:248
	v_mul_f64 v[33:34], v[57:58], v[33:34]
	s_waitcnt lgkmcnt(0)
	v_fma_f64 v[27:28], v[33:34], v[69:70], v[27:28]
	v_mul_f64 v[33:34], v[43:44], v[31:32]
	ds_read_b64 v[69:70], v255 offset:256
	v_mul_f64 v[33:34], v[47:48], v[33:34]
	s_waitcnt lgkmcnt(0)
	v_fma_f64 v[27:28], v[33:34], v[69:70], v[27:28]
	v_mul_f64 v[33:34], v[25:26], v[31:32]
	v_mul_f64 v[31:32], v[15:16], v[31:32]
	ds_read_b64 v[69:70], v255 offset:264
	v_mul_f64 v[33:34], v[39:40], v[33:34]
	v_mul_f64 v[31:32], v[19:20], v[31:32]
	s_waitcnt lgkmcnt(0)
	v_fma_f64 v[27:28], v[33:34], v[69:70], v[27:28]
	ds_read_b64 v[33:34], v255 offset:272
	ds_read_b64 v[69:70], v255 offset:280
	s_waitcnt lgkmcnt(1)
	v_fma_f64 v[27:28], v[31:32], v[33:34], v[27:28]
	v_mul_f64 v[31:32], v[8:9], v[29:30]
	;; [unrolled: 27-line block ×3, first 2 shown]
	v_mul_f64 v[29:30], v[67:68], v[29:30]
	v_mul_f64 v[31:32], v[39:40], v[31:32]
	;; [unrolled: 1-line block ×5, first 2 shown]
	s_waitcnt lgkmcnt(0)
	v_fma_f64 v[27:28], v[33:34], v[69:70], v[27:28]
	v_mul_f64 v[33:34], v[53:54], v[31:32]
	ds_read_b64 v[69:70], v255 offset:328
	v_mul_f64 v[33:34], v[57:58], v[33:34]
	s_waitcnt lgkmcnt(0)
	v_fma_f64 v[27:28], v[33:34], v[69:70], v[27:28]
	v_mul_f64 v[33:34], v[43:44], v[31:32]
	ds_read_b64 v[69:70], v255 offset:336
	v_mul_f64 v[33:34], v[47:48], v[33:34]
	s_waitcnt lgkmcnt(0)
	v_fma_f64 v[27:28], v[33:34], v[69:70], v[27:28]
	v_mul_f64 v[33:34], v[25:26], v[31:32]
	v_mul_f64 v[31:32], v[15:16], v[31:32]
	ds_read_b64 v[69:70], v255 offset:344
	v_mul_f64 v[33:34], v[39:40], v[33:34]
	v_mul_f64 v[31:32], v[19:20], v[31:32]
	s_waitcnt lgkmcnt(0)
	v_fma_f64 v[27:28], v[33:34], v[69:70], v[27:28]
	ds_read_b64 v[33:34], v255 offset:352
	s_waitcnt lgkmcnt(0)
	v_fma_f64 v[27:28], v[31:32], v[33:34], v[27:28]
	v_mul_f64 v[31:32], v[61:62], v[29:30]
	ds_read_b64 v[33:34], v255 offset:360
	v_mul_f64 v[31:32], v[65:66], v[31:32]
	s_waitcnt lgkmcnt(0)
	v_fma_f64 v[27:28], v[31:32], v[33:34], v[27:28]
	v_mul_f64 v[31:32], v[53:54], v[29:30]
	ds_read_b64 v[33:34], v255 offset:368
	v_mul_f64 v[31:32], v[57:58], v[31:32]
	;; [unrolled: 5-line block ×3, first 2 shown]
	s_waitcnt lgkmcnt(0)
	v_fma_f64 v[27:28], v[31:32], v[33:34], v[27:28]
	v_mul_f64 v[31:32], v[25:26], v[29:30]
	v_mul_f64 v[29:30], v[15:16], v[29:30]
	ds_read_b64 v[33:34], v255 offset:384
	v_mul_f64 v[31:32], v[39:40], v[31:32]
	v_mul_f64 v[29:30], v[19:20], v[29:30]
	s_waitcnt lgkmcnt(0)
	v_fma_f64 v[27:28], v[31:32], v[33:34], v[27:28]
	ds_read_b64 v[31:32], v255 offset:392
	s_waitcnt lgkmcnt(0)
	v_fma_f64 v[27:28], v[29:30], v[31:32], v[27:28]
	ds_read_b64 v[29:30], v36 offset:64
	ds_read_b64 v[31:32], v136 offset:64
	;; [unrolled: 1-line block ×3, first 2 shown]
	s_waitcnt lgkmcnt(1)
	v_mul_f64 v[29:30], v[29:30], v[31:32]
	v_mul_f64 v[31:32], v[4:5], v[29:30]
	;; [unrolled: 1-line block ×5, first 2 shown]
	s_waitcnt lgkmcnt(0)
	v_fma_f64 v[27:28], v[69:70], v[33:34], v[27:28]
	v_mul_f64 v[33:34], v[53:54], v[31:32]
	ds_read_b64 v[69:70], v255 offset:408
	v_mul_f64 v[33:34], v[57:58], v[33:34]
	s_waitcnt lgkmcnt(0)
	v_fma_f64 v[27:28], v[69:70], v[33:34], v[27:28]
	v_mul_f64 v[33:34], v[43:44], v[31:32]
	ds_read_b64 v[69:70], v255 offset:416
	v_mul_f64 v[33:34], v[47:48], v[33:34]
	s_waitcnt lgkmcnt(0)
	v_fma_f64 v[27:28], v[69:70], v[33:34], v[27:28]
	v_mul_f64 v[33:34], v[25:26], v[31:32]
	v_mul_f64 v[31:32], v[15:16], v[31:32]
	ds_read_b64 v[69:70], v255 offset:424
	v_mul_f64 v[33:34], v[39:40], v[33:34]
	v_mul_f64 v[31:32], v[19:20], v[31:32]
	s_waitcnt lgkmcnt(0)
	v_fma_f64 v[27:28], v[69:70], v[33:34], v[27:28]
	ds_read_b64 v[33:34], v255 offset:432
	ds_read_b64 v[69:70], v255 offset:440
	s_waitcnt lgkmcnt(1)
	v_fma_f64 v[27:28], v[31:32], v[33:34], v[27:28]
	v_mul_f64 v[31:32], v[6:7], v[29:30]
	v_mul_f64 v[31:32], v[57:58], v[31:32]
	v_mul_f64 v[33:34], v[61:62], v[31:32]
	v_mul_f64 v[33:34], v[65:66], v[33:34]
	s_waitcnt lgkmcnt(0)
	v_fma_f64 v[27:28], v[33:34], v[69:70], v[27:28]
	v_mul_f64 v[33:34], v[53:54], v[31:32]
	ds_read_b64 v[69:70], v255 offset:448
	v_mul_f64 v[33:34], v[57:58], v[33:34]
	s_waitcnt lgkmcnt(0)
	v_fma_f64 v[27:28], v[33:34], v[69:70], v[27:28]
	v_mul_f64 v[33:34], v[43:44], v[31:32]
	ds_read_b64 v[69:70], v255 offset:456
	v_mul_f64 v[33:34], v[47:48], v[33:34]
	s_waitcnt lgkmcnt(0)
	v_fma_f64 v[27:28], v[33:34], v[69:70], v[27:28]
	v_mul_f64 v[33:34], v[25:26], v[31:32]
	v_mul_f64 v[31:32], v[15:16], v[31:32]
	ds_read_b64 v[69:70], v255 offset:464
	v_mul_f64 v[33:34], v[39:40], v[33:34]
	v_mul_f64 v[31:32], v[19:20], v[31:32]
	s_waitcnt lgkmcnt(0)
	v_fma_f64 v[27:28], v[33:34], v[69:70], v[27:28]
	ds_read_b64 v[33:34], v255 offset:472
	ds_read_b64 v[69:70], v255 offset:480
	s_waitcnt lgkmcnt(1)
	v_fma_f64 v[27:28], v[31:32], v[33:34], v[27:28]
	v_mul_f64 v[31:32], v[8:9], v[29:30]
	v_mul_f64 v[31:32], v[47:48], v[31:32]
	v_mul_f64 v[33:34], v[61:62], v[31:32]
	v_mul_f64 v[33:34], v[65:66], v[33:34]
	;; [unrolled: 27-line block ×3, first 2 shown]
	v_mul_f64 v[33:34], v[61:62], v[31:32]
	v_mul_f64 v[33:34], v[65:66], v[33:34]
	s_waitcnt lgkmcnt(0)
	v_fma_f64 v[27:28], v[33:34], v[69:70], v[27:28]
	v_mul_f64 v[33:34], v[53:54], v[31:32]
	ds_read_b64 v[69:70], v255 offset:528
	v_mul_f64 v[33:34], v[57:58], v[33:34]
	s_waitcnt lgkmcnt(0)
	v_fma_f64 v[27:28], v[33:34], v[69:70], v[27:28]
	v_mul_f64 v[33:34], v[43:44], v[31:32]
	ds_read_b64 v[69:70], v255 offset:536
	v_mul_f64 v[33:34], v[47:48], v[33:34]
	s_waitcnt lgkmcnt(0)
	v_fma_f64 v[27:28], v[33:34], v[69:70], v[27:28]
	v_mul_f64 v[33:34], v[25:26], v[31:32]
	v_mul_f64 v[31:32], v[15:16], v[31:32]
	ds_read_b64 v[69:70], v255 offset:544
	v_mul_f64 v[33:34], v[39:40], v[33:34]
	v_mul_f64 v[31:32], v[19:20], v[31:32]
	s_waitcnt lgkmcnt(0)
	v_fma_f64 v[27:28], v[33:34], v[69:70], v[27:28]
	ds_read_b64 v[33:34], v255 offset:552
	s_waitcnt lgkmcnt(0)
	v_fma_f64 v[27:28], v[31:32], v[33:34], v[27:28]
	v_mul_f64 v[31:32], v[61:62], v[29:30]
	ds_read_b64 v[33:34], v255 offset:560
	v_mul_f64 v[31:32], v[65:66], v[31:32]
	s_waitcnt lgkmcnt(0)
	v_fma_f64 v[27:28], v[31:32], v[33:34], v[27:28]
	v_mul_f64 v[31:32], v[53:54], v[29:30]
	ds_read_b64 v[33:34], v255 offset:568
	v_mul_f64 v[31:32], v[57:58], v[31:32]
	;; [unrolled: 5-line block ×3, first 2 shown]
	s_waitcnt lgkmcnt(0)
	v_fma_f64 v[27:28], v[31:32], v[33:34], v[27:28]
	v_mul_f64 v[31:32], v[25:26], v[29:30]
	v_mul_f64 v[29:30], v[15:16], v[29:30]
	ds_read_b64 v[33:34], v255 offset:584
	v_mul_f64 v[31:32], v[39:40], v[31:32]
	v_mul_f64 v[29:30], v[19:20], v[29:30]
	s_waitcnt lgkmcnt(0)
	v_fma_f64 v[27:28], v[31:32], v[33:34], v[27:28]
	ds_read_b64 v[31:32], v255 offset:592
	s_waitcnt lgkmcnt(0)
	v_fma_f64 v[27:28], v[29:30], v[31:32], v[27:28]
	ds_read_b64 v[29:30], v36 offset:96
	ds_read_b64 v[31:32], v136 offset:96
	;; [unrolled: 1-line block ×3, first 2 shown]
	s_waitcnt lgkmcnt(1)
	v_mul_f64 v[29:30], v[29:30], v[31:32]
	v_mul_f64 v[31:32], v[4:5], v[29:30]
	;; [unrolled: 1-line block ×5, first 2 shown]
	s_waitcnt lgkmcnt(0)
	v_fma_f64 v[27:28], v[69:70], v[33:34], v[27:28]
	v_mul_f64 v[33:34], v[53:54], v[31:32]
	ds_read_b64 v[69:70], v255 offset:608
	v_mul_f64 v[33:34], v[57:58], v[33:34]
	s_waitcnt lgkmcnt(0)
	v_fma_f64 v[27:28], v[69:70], v[33:34], v[27:28]
	v_mul_f64 v[33:34], v[43:44], v[31:32]
	ds_read_b64 v[69:70], v255 offset:616
	v_mul_f64 v[33:34], v[47:48], v[33:34]
	s_waitcnt lgkmcnt(0)
	v_fma_f64 v[27:28], v[69:70], v[33:34], v[27:28]
	v_mul_f64 v[33:34], v[25:26], v[31:32]
	v_mul_f64 v[31:32], v[15:16], v[31:32]
	ds_read_b64 v[69:70], v255 offset:624
	v_mul_f64 v[33:34], v[39:40], v[33:34]
	v_mul_f64 v[31:32], v[19:20], v[31:32]
	s_waitcnt lgkmcnt(0)
	v_fma_f64 v[27:28], v[69:70], v[33:34], v[27:28]
	ds_read_b64 v[33:34], v255 offset:632
	ds_read_b64 v[69:70], v255 offset:640
	s_waitcnt lgkmcnt(1)
	v_fma_f64 v[27:28], v[31:32], v[33:34], v[27:28]
	v_mul_f64 v[31:32], v[6:7], v[29:30]
	v_mul_f64 v[31:32], v[57:58], v[31:32]
	v_mul_f64 v[33:34], v[61:62], v[31:32]
	v_mul_f64 v[33:34], v[65:66], v[33:34]
	s_waitcnt lgkmcnt(0)
	v_fma_f64 v[27:28], v[33:34], v[69:70], v[27:28]
	v_mul_f64 v[33:34], v[53:54], v[31:32]
	ds_read_b64 v[69:70], v255 offset:648
	v_mul_f64 v[33:34], v[57:58], v[33:34]
	s_waitcnt lgkmcnt(0)
	v_fma_f64 v[27:28], v[33:34], v[69:70], v[27:28]
	v_mul_f64 v[33:34], v[43:44], v[31:32]
	ds_read_b64 v[69:70], v255 offset:656
	v_mul_f64 v[33:34], v[47:48], v[33:34]
	s_waitcnt lgkmcnt(0)
	v_fma_f64 v[27:28], v[33:34], v[69:70], v[27:28]
	v_mul_f64 v[33:34], v[25:26], v[31:32]
	v_mul_f64 v[31:32], v[15:16], v[31:32]
	ds_read_b64 v[69:70], v255 offset:664
	v_mul_f64 v[33:34], v[39:40], v[33:34]
	v_mul_f64 v[31:32], v[19:20], v[31:32]
	s_waitcnt lgkmcnt(0)
	v_fma_f64 v[27:28], v[33:34], v[69:70], v[27:28]
	ds_read_b64 v[33:34], v255 offset:672
	ds_read_b64 v[69:70], v255 offset:680
	s_waitcnt lgkmcnt(1)
	v_fma_f64 v[27:28], v[31:32], v[33:34], v[27:28]
	v_mul_f64 v[31:32], v[8:9], v[29:30]
	v_mul_f64 v[31:32], v[47:48], v[31:32]
	v_mul_f64 v[33:34], v[61:62], v[31:32]
	v_mul_f64 v[33:34], v[65:66], v[33:34]
	s_waitcnt lgkmcnt(0)
	v_fma_f64 v[27:28], v[33:34], v[69:70], v[27:28]
	v_mul_f64 v[33:34], v[53:54], v[31:32]
	ds_read_b64 v[69:70], v255 offset:688
	v_mul_f64 v[33:34], v[57:58], v[33:34]
	s_waitcnt lgkmcnt(0)
	v_fma_f64 v[27:28], v[33:34], v[69:70], v[27:28]
	v_mul_f64 v[33:34], v[43:44], v[31:32]
	ds_read_b64 v[69:70], v255 offset:696
	v_mul_f64 v[33:34], v[47:48], v[33:34]
	s_waitcnt lgkmcnt(0)
	v_fma_f64 v[27:28], v[33:34], v[69:70], v[27:28]
	v_mul_f64 v[33:34], v[25:26], v[31:32]
	v_mul_f64 v[31:32], v[15:16], v[31:32]
	ds_read_b64 v[69:70], v255 offset:704
	v_mul_f64 v[33:34], v[39:40], v[33:34]
	v_mul_f64 v[31:32], v[19:20], v[31:32]
	s_waitcnt lgkmcnt(0)
	v_fma_f64 v[27:28], v[33:34], v[69:70], v[27:28]
	ds_read_b64 v[33:34], v255 offset:712
	ds_read_b64 v[69:70], v255 offset:720
	s_waitcnt lgkmcnt(1)
	v_fma_f64 v[27:28], v[31:32], v[33:34], v[27:28]
	v_mul_f64 v[31:32], v[2:3], v[29:30]
	v_mul_f64 v[29:30], v[67:68], v[29:30]
	v_mul_f64 v[31:32], v[39:40], v[31:32]
	v_mul_f64 v[29:30], v[19:20], v[29:30]
	v_mul_f64 v[33:34], v[61:62], v[31:32]
	v_mul_f64 v[33:34], v[65:66], v[33:34]
	s_waitcnt lgkmcnt(0)
	v_fma_f64 v[27:28], v[33:34], v[69:70], v[27:28]
	v_mul_f64 v[33:34], v[53:54], v[31:32]
	ds_read_b64 v[69:70], v255 offset:728
	v_mul_f64 v[33:34], v[57:58], v[33:34]
	s_waitcnt lgkmcnt(0)
	v_fma_f64 v[27:28], v[33:34], v[69:70], v[27:28]
	v_mul_f64 v[33:34], v[43:44], v[31:32]
	ds_read_b64 v[69:70], v255 offset:736
	v_mul_f64 v[33:34], v[47:48], v[33:34]
	s_waitcnt lgkmcnt(0)
	v_fma_f64 v[27:28], v[33:34], v[69:70], v[27:28]
	v_mul_f64 v[33:34], v[25:26], v[31:32]
	v_mul_f64 v[31:32], v[15:16], v[31:32]
	ds_read_b64 v[69:70], v255 offset:744
	v_mul_f64 v[33:34], v[39:40], v[33:34]
	v_mul_f64 v[31:32], v[19:20], v[31:32]
	s_waitcnt lgkmcnt(0)
	v_fma_f64 v[27:28], v[33:34], v[69:70], v[27:28]
	ds_read_b64 v[33:34], v255 offset:752
	s_waitcnt lgkmcnt(0)
	v_fma_f64 v[27:28], v[31:32], v[33:34], v[27:28]
	v_mul_f64 v[31:32], v[61:62], v[29:30]
	ds_read_b64 v[33:34], v255 offset:760
	v_mul_f64 v[31:32], v[65:66], v[31:32]
	s_waitcnt lgkmcnt(0)
	v_fma_f64 v[27:28], v[31:32], v[33:34], v[27:28]
	v_mul_f64 v[31:32], v[53:54], v[29:30]
	ds_read_b64 v[33:34], v255 offset:768
	v_mul_f64 v[31:32], v[57:58], v[31:32]
	;; [unrolled: 5-line block ×3, first 2 shown]
	s_waitcnt lgkmcnt(0)
	v_fma_f64 v[27:28], v[31:32], v[33:34], v[27:28]
	v_mul_f64 v[31:32], v[25:26], v[29:30]
	v_mul_f64 v[29:30], v[15:16], v[29:30]
	ds_read_b64 v[33:34], v255 offset:784
	v_mul_f64 v[31:32], v[39:40], v[31:32]
	v_mul_f64 v[29:30], v[19:20], v[29:30]
	s_waitcnt lgkmcnt(0)
	v_fma_f64 v[27:28], v[31:32], v[33:34], v[27:28]
	ds_read_b64 v[31:32], v255 offset:792
	s_waitcnt lgkmcnt(0)
	v_fma_f64 v[27:28], v[29:30], v[31:32], v[27:28]
	ds_read_b64 v[29:30], v36 offset:128
	ds_read_b64 v[31:32], v136 offset:128
	;; [unrolled: 1-line block ×3, first 2 shown]
	s_waitcnt lgkmcnt(1)
	v_mul_f64 v[29:30], v[29:30], v[31:32]
	v_mul_f64 v[4:5], v[4:5], v[29:30]
	;; [unrolled: 1-line block ×9, first 2 shown]
	s_waitcnt lgkmcnt(0)
	v_fma_f64 v[27:28], v[33:34], v[31:32], v[27:28]
	v_mul_f64 v[31:32], v[53:54], v[4:5]
	ds_read_b64 v[33:34], v255 offset:808
	v_mul_f64 v[31:32], v[57:58], v[31:32]
	s_waitcnt lgkmcnt(0)
	v_fma_f64 v[27:28], v[33:34], v[31:32], v[27:28]
	v_mul_f64 v[31:32], v[43:44], v[4:5]
	ds_read_b64 v[33:34], v255 offset:816
	v_mul_f64 v[31:32], v[47:48], v[31:32]
	s_waitcnt lgkmcnt(0)
	v_fma_f64 v[27:28], v[33:34], v[31:32], v[27:28]
	v_mul_f64 v[31:32], v[25:26], v[4:5]
	v_mul_f64 v[4:5], v[15:16], v[4:5]
	ds_read_b64 v[33:34], v255 offset:824
	v_mul_f64 v[31:32], v[39:40], v[31:32]
	v_mul_f64 v[4:5], v[19:20], v[4:5]
	s_waitcnt lgkmcnt(0)
	v_fma_f64 v[27:28], v[33:34], v[31:32], v[27:28]
	ds_read_b64 v[31:32], v255 offset:832
	s_waitcnt lgkmcnt(0)
	v_fma_f64 v[4:5], v[4:5], v[31:32], v[27:28]
	v_mul_f64 v[27:28], v[61:62], v[6:7]
	ds_read_b64 v[31:32], v255 offset:840
	v_mul_f64 v[27:28], v[65:66], v[27:28]
	s_waitcnt lgkmcnt(0)
	v_fma_f64 v[4:5], v[27:28], v[31:32], v[4:5]
	v_mul_f64 v[27:28], v[53:54], v[6:7]
	ds_read_b64 v[31:32], v255 offset:848
	v_mul_f64 v[27:28], v[57:58], v[27:28]
	s_waitcnt lgkmcnt(0)
	v_fma_f64 v[4:5], v[27:28], v[31:32], v[4:5]
	v_mul_f64 v[27:28], v[43:44], v[6:7]
	ds_read_b64 v[31:32], v255 offset:856
	v_mul_f64 v[27:28], v[47:48], v[27:28]
	s_waitcnt lgkmcnt(0)
	v_fma_f64 v[4:5], v[27:28], v[31:32], v[4:5]
	v_mul_f64 v[27:28], v[25:26], v[6:7]
	v_mul_f64 v[6:7], v[15:16], v[6:7]
	ds_read_b64 v[31:32], v255 offset:864
	v_mul_f64 v[27:28], v[39:40], v[27:28]
	v_mul_f64 v[6:7], v[19:20], v[6:7]
	s_waitcnt lgkmcnt(0)
	v_fma_f64 v[4:5], v[27:28], v[31:32], v[4:5]
	ds_read_b64 v[27:28], v255 offset:872
	s_waitcnt lgkmcnt(0)
	v_fma_f64 v[4:5], v[6:7], v[27:28], v[4:5]
	v_mul_f64 v[6:7], v[8:9], v[29:30]
	ds_read_b64 v[27:28], v255 offset:880
	v_mul_f64 v[6:7], v[47:48], v[6:7]
	v_mul_f64 v[8:9], v[61:62], v[6:7]
	;; [unrolled: 1-line block ×3, first 2 shown]
	s_waitcnt lgkmcnt(0)
	v_fma_f64 v[4:5], v[8:9], v[27:28], v[4:5]
	v_mul_f64 v[8:9], v[53:54], v[6:7]
	ds_read_b64 v[27:28], v255 offset:888
	v_mul_f64 v[8:9], v[57:58], v[8:9]
	s_waitcnt lgkmcnt(0)
	v_fma_f64 v[4:5], v[8:9], v[27:28], v[4:5]
	v_mul_f64 v[8:9], v[43:44], v[6:7]
	ds_read_b64 v[27:28], v255 offset:896
	v_mul_f64 v[8:9], v[47:48], v[8:9]
	s_waitcnt lgkmcnt(0)
	v_fma_f64 v[4:5], v[8:9], v[27:28], v[4:5]
	v_mul_f64 v[8:9], v[25:26], v[6:7]
	v_mul_f64 v[6:7], v[15:16], v[6:7]
	ds_read_b64 v[27:28], v255 offset:904
	v_mul_f64 v[8:9], v[39:40], v[8:9]
	v_mul_f64 v[6:7], v[19:20], v[6:7]
	s_waitcnt lgkmcnt(0)
	v_fma_f64 v[4:5], v[8:9], v[27:28], v[4:5]
	ds_read_b64 v[8:9], v255 offset:912
	s_waitcnt lgkmcnt(0)
	v_fma_f64 v[4:5], v[6:7], v[8:9], v[4:5]
	v_mul_f64 v[6:7], v[61:62], v[2:3]
	ds_read_b64 v[8:9], v255 offset:920
	v_mul_f64 v[6:7], v[65:66], v[6:7]
	s_waitcnt lgkmcnt(0)
	v_fma_f64 v[4:5], v[6:7], v[8:9], v[4:5]
	v_mul_f64 v[6:7], v[53:54], v[2:3]
	ds_read_b64 v[8:9], v255 offset:928
	v_mul_f64 v[6:7], v[57:58], v[6:7]
	;; [unrolled: 5-line block ×3, first 2 shown]
	s_waitcnt lgkmcnt(0)
	v_fma_f64 v[4:5], v[6:7], v[8:9], v[4:5]
	v_mul_f64 v[6:7], v[25:26], v[2:3]
	v_mul_f64 v[2:3], v[15:16], v[2:3]
	ds_read_b64 v[8:9], v255 offset:944
	v_mul_f64 v[6:7], v[39:40], v[6:7]
	v_mul_f64 v[2:3], v[19:20], v[2:3]
	s_waitcnt lgkmcnt(0)
	v_fma_f64 v[4:5], v[6:7], v[8:9], v[4:5]
	ds_read_b64 v[6:7], v255 offset:952
	ds_read_b64 v[8:9], v255 offset:960
	s_waitcnt lgkmcnt(1)
	v_fma_f64 v[2:3], v[2:3], v[6:7], v[4:5]
	v_mul_f64 v[4:5], v[67:68], v[29:30]
	v_mul_f64 v[4:5], v[19:20], v[4:5]
	;; [unrolled: 1-line block ×4, first 2 shown]
	s_waitcnt lgkmcnt(0)
	v_fma_f64 v[2:3], v[6:7], v[8:9], v[2:3]
	v_mul_f64 v[6:7], v[53:54], v[4:5]
	ds_read_b64 v[8:9], v255 offset:968
	v_mul_f64 v[6:7], v[57:58], v[6:7]
	s_waitcnt lgkmcnt(0)
	v_fma_f64 v[2:3], v[6:7], v[8:9], v[2:3]
	v_mul_f64 v[6:7], v[43:44], v[4:5]
	ds_read_b64 v[8:9], v255 offset:976
	v_mul_f64 v[6:7], v[47:48], v[6:7]
	s_waitcnt lgkmcnt(0)
	v_fma_f64 v[2:3], v[6:7], v[8:9], v[2:3]
	v_mul_f64 v[6:7], v[25:26], v[4:5]
	v_mul_f64 v[4:5], v[15:16], v[4:5]
	ds_read_b64 v[8:9], v255 offset:984
	v_mul_f64 v[6:7], v[39:40], v[6:7]
	v_mul_f64 v[4:5], v[19:20], v[4:5]
	s_waitcnt lgkmcnt(0)
	v_fma_f64 v[2:3], v[6:7], v[8:9], v[2:3]
	ds_read_b64 v[6:7], v255 offset:992
	s_waitcnt lgkmcnt(0)
	v_fma_f64 v[2:3], v[4:5], v[6:7], v[2:3]
	global_store_dwordx2 v[253:254], v[2:3], off
	ds_read2_b64 v[105:108], v255 offset0:128 offset1:129
	ds_read_b64 v[43:44], v131
	ds_read_b64 v[39:40], v131 offset:32
	ds_read2_b64 v[101:104], v255 offset0:132 offset1:133
	ds_read_b64 v[25:26], v131 offset:64
	ds_read2_b64 v[95:98], v255 offset0:136 offset1:137
	;; [unrolled: 2-line block ×4, first 2 shown]
	ds_read_b64 v[4:5], v132
	ds_read_b64 v[6:7], v132 offset:32
	ds_read_b64 v[8:9], v132 offset:64
	;; [unrolled: 1-line block ×4, first 2 shown]
	ds_read_b64 v[27:28], v36
	ds_read_b64 v[29:30], v36 offset:32
	ds_read_b64 v[31:32], v136
	ds_read_b64 v[33:34], v136 offset:32
	;; [unrolled: 2-line block ×3, first 2 shown]
	ds_read_b64 v[73:74], v255 offset:16
	ds_read_b64 v[75:76], v255 offset:24
	;; [unrolled: 1-line block ×6, first 2 shown]
	s_waitcnt lgkmcnt(9)
	v_mul_f64 v[27:28], v[27:28], v[31:32]
	s_waitcnt lgkmcnt(8)
	v_mul_f64 v[29:30], v[29:30], v[33:34]
	v_mul_f64 v[31:32], v[4:5], v[27:28]
	v_mul_f64 v[31:32], v[105:106], v[31:32]
	v_mul_f64 v[53:54], v[43:44], v[31:32]
	v_mul_f64 v[53:54], v[107:108], v[53:54]
	s_waitcnt lgkmcnt(7)
	v_fma_f64 v[53:54], v[57:58], v[53:54], 0
	v_mul_f64 v[57:58], v[39:40], v[31:32]
	v_mul_f64 v[57:58], v[103:104], v[57:58]
	s_waitcnt lgkmcnt(6)
	v_fma_f64 v[53:54], v[61:62], v[57:58], v[53:54]
	v_mul_f64 v[57:58], v[25:26], v[31:32]
	ds_read_b64 v[61:62], v255 offset:64
	v_mul_f64 v[57:58], v[97:98], v[57:58]
	s_waitcnt lgkmcnt(6)
	v_fma_f64 v[53:54], v[73:74], v[57:58], v[53:54]
	v_mul_f64 v[57:58], v[19:20], v[31:32]
	v_mul_f64 v[31:32], v[15:16], v[31:32]
	;; [unrolled: 1-line block ×4, first 2 shown]
	s_waitcnt lgkmcnt(5)
	v_fma_f64 v[53:54], v[75:76], v[57:58], v[53:54]
	s_waitcnt lgkmcnt(4)
	v_fma_f64 v[31:32], v[31:32], v[79:80], v[53:54]
	v_mul_f64 v[53:54], v[6:7], v[27:28]
	v_mul_f64 v[53:54], v[101:102], v[53:54]
	;; [unrolled: 1-line block ×4, first 2 shown]
	s_waitcnt lgkmcnt(3)
	v_fma_f64 v[31:32], v[57:58], v[83:84], v[31:32]
	v_mul_f64 v[57:58], v[39:40], v[53:54]
	v_mul_f64 v[57:58], v[103:104], v[57:58]
	s_waitcnt lgkmcnt(2)
	v_fma_f64 v[31:32], v[57:58], v[87:88], v[31:32]
	v_mul_f64 v[57:58], v[25:26], v[53:54]
	v_mul_f64 v[57:58], v[97:98], v[57:58]
	;; [unrolled: 4-line block ×3, first 2 shown]
	v_mul_f64 v[57:58], v[71:72], v[57:58]
	v_mul_f64 v[53:54], v[67:68], v[53:54]
	s_waitcnt lgkmcnt(0)
	v_fma_f64 v[31:32], v[57:58], v[61:62], v[31:32]
	ds_read_b64 v[57:58], v255 offset:72
	ds_read_b64 v[61:62], v255 offset:80
	s_waitcnt lgkmcnt(1)
	v_fma_f64 v[31:32], v[53:54], v[57:58], v[31:32]
	v_mul_f64 v[53:54], v[8:9], v[27:28]
	v_mul_f64 v[53:54], v[95:96], v[53:54]
	;; [unrolled: 1-line block ×4, first 2 shown]
	s_waitcnt lgkmcnt(0)
	v_fma_f64 v[31:32], v[57:58], v[61:62], v[31:32]
	v_mul_f64 v[57:58], v[39:40], v[53:54]
	ds_read_b64 v[61:62], v255 offset:88
	v_mul_f64 v[57:58], v[103:104], v[57:58]
	s_waitcnt lgkmcnt(0)
	v_fma_f64 v[31:32], v[57:58], v[61:62], v[31:32]
	v_mul_f64 v[57:58], v[25:26], v[53:54]
	ds_read_b64 v[61:62], v255 offset:96
	v_mul_f64 v[57:58], v[97:98], v[57:58]
	s_waitcnt lgkmcnt(0)
	v_fma_f64 v[31:32], v[57:58], v[61:62], v[31:32]
	v_mul_f64 v[57:58], v[19:20], v[53:54]
	v_mul_f64 v[53:54], v[15:16], v[53:54]
	ds_read_b64 v[61:62], v255 offset:104
	v_mul_f64 v[57:58], v[71:72], v[57:58]
	v_mul_f64 v[53:54], v[67:68], v[53:54]
	s_waitcnt lgkmcnt(0)
	v_fma_f64 v[31:32], v[57:58], v[61:62], v[31:32]
	ds_read_b64 v[57:58], v255 offset:112
	ds_read_b64 v[61:62], v255 offset:120
	s_waitcnt lgkmcnt(1)
	v_fma_f64 v[31:32], v[53:54], v[57:58], v[31:32]
	v_mul_f64 v[53:54], v[2:3], v[27:28]
	v_mul_f64 v[27:28], v[47:48], v[27:28]
	;; [unrolled: 1-line block ×6, first 2 shown]
	s_waitcnt lgkmcnt(0)
	v_fma_f64 v[31:32], v[57:58], v[61:62], v[31:32]
	v_mul_f64 v[57:58], v[39:40], v[53:54]
	ds_read_b64 v[61:62], v255 offset:128
	v_mul_f64 v[57:58], v[103:104], v[57:58]
	s_waitcnt lgkmcnt(0)
	v_fma_f64 v[31:32], v[57:58], v[61:62], v[31:32]
	v_mul_f64 v[57:58], v[25:26], v[53:54]
	ds_read_b64 v[61:62], v255 offset:136
	v_mul_f64 v[57:58], v[97:98], v[57:58]
	s_waitcnt lgkmcnt(0)
	v_fma_f64 v[31:32], v[57:58], v[61:62], v[31:32]
	v_mul_f64 v[57:58], v[19:20], v[53:54]
	v_mul_f64 v[53:54], v[15:16], v[53:54]
	ds_read_b64 v[61:62], v255 offset:144
	v_mul_f64 v[57:58], v[71:72], v[57:58]
	v_mul_f64 v[53:54], v[67:68], v[53:54]
	s_waitcnt lgkmcnt(0)
	v_fma_f64 v[31:32], v[57:58], v[61:62], v[31:32]
	ds_read_b64 v[57:58], v255 offset:152
	s_waitcnt lgkmcnt(0)
	v_fma_f64 v[31:32], v[53:54], v[57:58], v[31:32]
	v_mul_f64 v[53:54], v[43:44], v[27:28]
	ds_read_b64 v[57:58], v255 offset:160
	v_mul_f64 v[53:54], v[107:108], v[53:54]
	s_waitcnt lgkmcnt(0)
	v_fma_f64 v[31:32], v[53:54], v[57:58], v[31:32]
	v_mul_f64 v[53:54], v[39:40], v[27:28]
	ds_read_b64 v[57:58], v255 offset:168
	v_mul_f64 v[53:54], v[103:104], v[53:54]
	;; [unrolled: 5-line block ×3, first 2 shown]
	s_waitcnt lgkmcnt(0)
	v_fma_f64 v[31:32], v[53:54], v[57:58], v[31:32]
	v_mul_f64 v[53:54], v[19:20], v[27:28]
	v_mul_f64 v[27:28], v[15:16], v[27:28]
	ds_read_b64 v[57:58], v255 offset:184
	v_mul_f64 v[53:54], v[71:72], v[53:54]
	v_mul_f64 v[27:28], v[67:68], v[27:28]
	s_waitcnt lgkmcnt(0)
	v_fma_f64 v[31:32], v[53:54], v[57:58], v[31:32]
	ds_read_b64 v[53:54], v255 offset:192
	s_waitcnt lgkmcnt(0)
	v_fma_f64 v[27:28], v[27:28], v[53:54], v[31:32]
	v_mul_f64 v[31:32], v[4:5], v[29:30]
	ds_read_b64 v[53:54], v255 offset:200
	v_mul_f64 v[31:32], v[105:106], v[31:32]
	v_mul_f64 v[33:34], v[43:44], v[31:32]
	v_mul_f64 v[33:34], v[107:108], v[33:34]
	s_waitcnt lgkmcnt(0)
	v_fma_f64 v[27:28], v[53:54], v[33:34], v[27:28]
	v_mul_f64 v[33:34], v[39:40], v[31:32]
	ds_read_b64 v[53:54], v255 offset:208
	v_mul_f64 v[33:34], v[103:104], v[33:34]
	s_waitcnt lgkmcnt(0)
	v_fma_f64 v[27:28], v[53:54], v[33:34], v[27:28]
	v_mul_f64 v[33:34], v[25:26], v[31:32]
	ds_read_b64 v[53:54], v255 offset:216
	v_mul_f64 v[33:34], v[97:98], v[33:34]
	s_waitcnt lgkmcnt(0)
	v_fma_f64 v[27:28], v[53:54], v[33:34], v[27:28]
	v_mul_f64 v[33:34], v[19:20], v[31:32]
	v_mul_f64 v[31:32], v[15:16], v[31:32]
	ds_read_b64 v[53:54], v255 offset:224
	v_mul_f64 v[33:34], v[71:72], v[33:34]
	v_mul_f64 v[31:32], v[67:68], v[31:32]
	s_waitcnt lgkmcnt(0)
	v_fma_f64 v[27:28], v[53:54], v[33:34], v[27:28]
	ds_read_b64 v[33:34], v255 offset:232
	ds_read_b64 v[53:54], v255 offset:240
	s_waitcnt lgkmcnt(1)
	v_fma_f64 v[27:28], v[31:32], v[33:34], v[27:28]
	v_mul_f64 v[31:32], v[6:7], v[29:30]
	v_mul_f64 v[31:32], v[101:102], v[31:32]
	v_mul_f64 v[33:34], v[43:44], v[31:32]
	v_mul_f64 v[33:34], v[107:108], v[33:34]
	s_waitcnt lgkmcnt(0)
	v_fma_f64 v[27:28], v[33:34], v[53:54], v[27:28]
	v_mul_f64 v[33:34], v[39:40], v[31:32]
	ds_read_b64 v[53:54], v255 offset:248
	v_mul_f64 v[33:34], v[103:104], v[33:34]
	s_waitcnt lgkmcnt(0)
	v_fma_f64 v[27:28], v[33:34], v[53:54], v[27:28]
	v_mul_f64 v[33:34], v[25:26], v[31:32]
	ds_read_b64 v[53:54], v255 offset:256
	v_mul_f64 v[33:34], v[97:98], v[33:34]
	s_waitcnt lgkmcnt(0)
	v_fma_f64 v[27:28], v[33:34], v[53:54], v[27:28]
	v_mul_f64 v[33:34], v[19:20], v[31:32]
	v_mul_f64 v[31:32], v[15:16], v[31:32]
	ds_read_b64 v[53:54], v255 offset:264
	v_mul_f64 v[33:34], v[71:72], v[33:34]
	v_mul_f64 v[31:32], v[67:68], v[31:32]
	s_waitcnt lgkmcnt(0)
	v_fma_f64 v[27:28], v[33:34], v[53:54], v[27:28]
	ds_read_b64 v[33:34], v255 offset:272
	ds_read_b64 v[53:54], v255 offset:280
	s_waitcnt lgkmcnt(1)
	v_fma_f64 v[27:28], v[31:32], v[33:34], v[27:28]
	v_mul_f64 v[31:32], v[8:9], v[29:30]
	;; [unrolled: 27-line block ×3, first 2 shown]
	v_mul_f64 v[29:30], v[47:48], v[29:30]
	v_mul_f64 v[31:32], v[69:70], v[31:32]
	;; [unrolled: 1-line block ×5, first 2 shown]
	s_waitcnt lgkmcnt(0)
	v_fma_f64 v[27:28], v[33:34], v[53:54], v[27:28]
	v_mul_f64 v[33:34], v[39:40], v[31:32]
	ds_read_b64 v[53:54], v255 offset:328
	v_mul_f64 v[33:34], v[103:104], v[33:34]
	s_waitcnt lgkmcnt(0)
	v_fma_f64 v[27:28], v[33:34], v[53:54], v[27:28]
	v_mul_f64 v[33:34], v[25:26], v[31:32]
	ds_read_b64 v[53:54], v255 offset:336
	v_mul_f64 v[33:34], v[97:98], v[33:34]
	s_waitcnt lgkmcnt(0)
	v_fma_f64 v[27:28], v[33:34], v[53:54], v[27:28]
	v_mul_f64 v[33:34], v[19:20], v[31:32]
	v_mul_f64 v[31:32], v[15:16], v[31:32]
	ds_read_b64 v[53:54], v255 offset:344
	v_mul_f64 v[33:34], v[71:72], v[33:34]
	v_mul_f64 v[31:32], v[67:68], v[31:32]
	s_waitcnt lgkmcnt(0)
	v_fma_f64 v[27:28], v[33:34], v[53:54], v[27:28]
	ds_read_b64 v[33:34], v255 offset:352
	s_waitcnt lgkmcnt(0)
	v_fma_f64 v[27:28], v[31:32], v[33:34], v[27:28]
	v_mul_f64 v[31:32], v[43:44], v[29:30]
	ds_read_b64 v[33:34], v255 offset:360
	v_mul_f64 v[31:32], v[107:108], v[31:32]
	s_waitcnt lgkmcnt(0)
	v_fma_f64 v[27:28], v[31:32], v[33:34], v[27:28]
	v_mul_f64 v[31:32], v[39:40], v[29:30]
	ds_read_b64 v[33:34], v255 offset:368
	v_mul_f64 v[31:32], v[103:104], v[31:32]
	;; [unrolled: 5-line block ×3, first 2 shown]
	s_waitcnt lgkmcnt(0)
	v_fma_f64 v[27:28], v[31:32], v[33:34], v[27:28]
	v_mul_f64 v[31:32], v[19:20], v[29:30]
	v_mul_f64 v[29:30], v[15:16], v[29:30]
	ds_read_b64 v[33:34], v255 offset:384
	v_mul_f64 v[31:32], v[71:72], v[31:32]
	v_mul_f64 v[29:30], v[67:68], v[29:30]
	s_waitcnt lgkmcnt(0)
	v_fma_f64 v[27:28], v[31:32], v[33:34], v[27:28]
	ds_read_b64 v[31:32], v255 offset:392
	s_waitcnt lgkmcnt(0)
	v_fma_f64 v[27:28], v[29:30], v[31:32], v[27:28]
	ds_read_b64 v[29:30], v36 offset:64
	ds_read_b64 v[31:32], v136 offset:64
	;; [unrolled: 1-line block ×3, first 2 shown]
	s_waitcnt lgkmcnt(1)
	v_mul_f64 v[29:30], v[29:30], v[31:32]
	v_mul_f64 v[31:32], v[4:5], v[29:30]
	;; [unrolled: 1-line block ×5, first 2 shown]
	s_waitcnt lgkmcnt(0)
	v_fma_f64 v[27:28], v[53:54], v[33:34], v[27:28]
	v_mul_f64 v[33:34], v[39:40], v[31:32]
	ds_read_b64 v[53:54], v255 offset:408
	v_mul_f64 v[33:34], v[103:104], v[33:34]
	s_waitcnt lgkmcnt(0)
	v_fma_f64 v[27:28], v[53:54], v[33:34], v[27:28]
	v_mul_f64 v[33:34], v[25:26], v[31:32]
	ds_read_b64 v[53:54], v255 offset:416
	v_mul_f64 v[33:34], v[97:98], v[33:34]
	s_waitcnt lgkmcnt(0)
	v_fma_f64 v[27:28], v[53:54], v[33:34], v[27:28]
	v_mul_f64 v[33:34], v[19:20], v[31:32]
	v_mul_f64 v[31:32], v[15:16], v[31:32]
	ds_read_b64 v[53:54], v255 offset:424
	v_mul_f64 v[33:34], v[71:72], v[33:34]
	v_mul_f64 v[31:32], v[67:68], v[31:32]
	s_waitcnt lgkmcnt(0)
	v_fma_f64 v[27:28], v[53:54], v[33:34], v[27:28]
	ds_read_b64 v[33:34], v255 offset:432
	ds_read_b64 v[53:54], v255 offset:440
	s_waitcnt lgkmcnt(1)
	v_fma_f64 v[27:28], v[31:32], v[33:34], v[27:28]
	v_mul_f64 v[31:32], v[6:7], v[29:30]
	v_mul_f64 v[31:32], v[101:102], v[31:32]
	v_mul_f64 v[33:34], v[43:44], v[31:32]
	v_mul_f64 v[33:34], v[107:108], v[33:34]
	s_waitcnt lgkmcnt(0)
	v_fma_f64 v[27:28], v[33:34], v[53:54], v[27:28]
	v_mul_f64 v[33:34], v[39:40], v[31:32]
	ds_read_b64 v[53:54], v255 offset:448
	v_mul_f64 v[33:34], v[103:104], v[33:34]
	s_waitcnt lgkmcnt(0)
	v_fma_f64 v[27:28], v[33:34], v[53:54], v[27:28]
	v_mul_f64 v[33:34], v[25:26], v[31:32]
	ds_read_b64 v[53:54], v255 offset:456
	v_mul_f64 v[33:34], v[97:98], v[33:34]
	s_waitcnt lgkmcnt(0)
	v_fma_f64 v[27:28], v[33:34], v[53:54], v[27:28]
	v_mul_f64 v[33:34], v[19:20], v[31:32]
	v_mul_f64 v[31:32], v[15:16], v[31:32]
	ds_read_b64 v[53:54], v255 offset:464
	v_mul_f64 v[33:34], v[71:72], v[33:34]
	v_mul_f64 v[31:32], v[67:68], v[31:32]
	s_waitcnt lgkmcnt(0)
	v_fma_f64 v[27:28], v[33:34], v[53:54], v[27:28]
	ds_read_b64 v[33:34], v255 offset:472
	ds_read_b64 v[53:54], v255 offset:480
	s_waitcnt lgkmcnt(1)
	v_fma_f64 v[27:28], v[31:32], v[33:34], v[27:28]
	v_mul_f64 v[31:32], v[8:9], v[29:30]
	v_mul_f64 v[31:32], v[95:96], v[31:32]
	v_mul_f64 v[33:34], v[43:44], v[31:32]
	v_mul_f64 v[33:34], v[107:108], v[33:34]
	;; [unrolled: 27-line block ×3, first 2 shown]
	v_mul_f64 v[33:34], v[43:44], v[31:32]
	v_mul_f64 v[33:34], v[107:108], v[33:34]
	s_waitcnt lgkmcnt(0)
	v_fma_f64 v[27:28], v[33:34], v[53:54], v[27:28]
	v_mul_f64 v[33:34], v[39:40], v[31:32]
	ds_read_b64 v[53:54], v255 offset:528
	v_mul_f64 v[33:34], v[103:104], v[33:34]
	s_waitcnt lgkmcnt(0)
	v_fma_f64 v[27:28], v[33:34], v[53:54], v[27:28]
	v_mul_f64 v[33:34], v[25:26], v[31:32]
	ds_read_b64 v[53:54], v255 offset:536
	v_mul_f64 v[33:34], v[97:98], v[33:34]
	s_waitcnt lgkmcnt(0)
	v_fma_f64 v[27:28], v[33:34], v[53:54], v[27:28]
	v_mul_f64 v[33:34], v[19:20], v[31:32]
	v_mul_f64 v[31:32], v[15:16], v[31:32]
	ds_read_b64 v[53:54], v255 offset:544
	v_mul_f64 v[33:34], v[71:72], v[33:34]
	v_mul_f64 v[31:32], v[67:68], v[31:32]
	s_waitcnt lgkmcnt(0)
	v_fma_f64 v[27:28], v[33:34], v[53:54], v[27:28]
	ds_read_b64 v[33:34], v255 offset:552
	s_waitcnt lgkmcnt(0)
	v_fma_f64 v[27:28], v[31:32], v[33:34], v[27:28]
	v_mul_f64 v[31:32], v[43:44], v[29:30]
	ds_read_b64 v[33:34], v255 offset:560
	v_mul_f64 v[31:32], v[107:108], v[31:32]
	s_waitcnt lgkmcnt(0)
	v_fma_f64 v[27:28], v[31:32], v[33:34], v[27:28]
	v_mul_f64 v[31:32], v[39:40], v[29:30]
	ds_read_b64 v[33:34], v255 offset:568
	v_mul_f64 v[31:32], v[103:104], v[31:32]
	;; [unrolled: 5-line block ×3, first 2 shown]
	s_waitcnt lgkmcnt(0)
	v_fma_f64 v[27:28], v[31:32], v[33:34], v[27:28]
	v_mul_f64 v[31:32], v[19:20], v[29:30]
	v_mul_f64 v[29:30], v[15:16], v[29:30]
	ds_read_b64 v[33:34], v255 offset:584
	v_mul_f64 v[31:32], v[71:72], v[31:32]
	v_mul_f64 v[29:30], v[67:68], v[29:30]
	s_waitcnt lgkmcnt(0)
	v_fma_f64 v[27:28], v[31:32], v[33:34], v[27:28]
	ds_read_b64 v[31:32], v255 offset:592
	s_waitcnt lgkmcnt(0)
	v_fma_f64 v[27:28], v[29:30], v[31:32], v[27:28]
	ds_read_b64 v[29:30], v36 offset:96
	ds_read_b64 v[31:32], v136 offset:96
	ds_read_b64 v[53:54], v255 offset:600
	s_waitcnt lgkmcnt(1)
	v_mul_f64 v[29:30], v[29:30], v[31:32]
	v_mul_f64 v[31:32], v[4:5], v[29:30]
	;; [unrolled: 1-line block ×5, first 2 shown]
	s_waitcnt lgkmcnt(0)
	v_fma_f64 v[27:28], v[53:54], v[33:34], v[27:28]
	v_mul_f64 v[33:34], v[39:40], v[31:32]
	ds_read_b64 v[53:54], v255 offset:608
	v_mul_f64 v[33:34], v[103:104], v[33:34]
	s_waitcnt lgkmcnt(0)
	v_fma_f64 v[27:28], v[53:54], v[33:34], v[27:28]
	v_mul_f64 v[33:34], v[25:26], v[31:32]
	ds_read_b64 v[53:54], v255 offset:616
	v_mul_f64 v[33:34], v[97:98], v[33:34]
	s_waitcnt lgkmcnt(0)
	v_fma_f64 v[27:28], v[53:54], v[33:34], v[27:28]
	v_mul_f64 v[33:34], v[19:20], v[31:32]
	v_mul_f64 v[31:32], v[15:16], v[31:32]
	ds_read_b64 v[53:54], v255 offset:624
	v_mul_f64 v[33:34], v[71:72], v[33:34]
	v_mul_f64 v[31:32], v[67:68], v[31:32]
	s_waitcnt lgkmcnt(0)
	v_fma_f64 v[27:28], v[53:54], v[33:34], v[27:28]
	ds_read_b64 v[33:34], v255 offset:632
	ds_read_b64 v[53:54], v255 offset:640
	s_waitcnt lgkmcnt(1)
	v_fma_f64 v[27:28], v[31:32], v[33:34], v[27:28]
	v_mul_f64 v[31:32], v[6:7], v[29:30]
	v_mul_f64 v[31:32], v[101:102], v[31:32]
	v_mul_f64 v[33:34], v[43:44], v[31:32]
	v_mul_f64 v[33:34], v[107:108], v[33:34]
	s_waitcnt lgkmcnt(0)
	v_fma_f64 v[27:28], v[33:34], v[53:54], v[27:28]
	v_mul_f64 v[33:34], v[39:40], v[31:32]
	ds_read_b64 v[53:54], v255 offset:648
	v_mul_f64 v[33:34], v[103:104], v[33:34]
	s_waitcnt lgkmcnt(0)
	v_fma_f64 v[27:28], v[33:34], v[53:54], v[27:28]
	v_mul_f64 v[33:34], v[25:26], v[31:32]
	ds_read_b64 v[53:54], v255 offset:656
	v_mul_f64 v[33:34], v[97:98], v[33:34]
	s_waitcnt lgkmcnt(0)
	v_fma_f64 v[27:28], v[33:34], v[53:54], v[27:28]
	v_mul_f64 v[33:34], v[19:20], v[31:32]
	v_mul_f64 v[31:32], v[15:16], v[31:32]
	ds_read_b64 v[53:54], v255 offset:664
	v_mul_f64 v[33:34], v[71:72], v[33:34]
	v_mul_f64 v[31:32], v[67:68], v[31:32]
	s_waitcnt lgkmcnt(0)
	v_fma_f64 v[27:28], v[33:34], v[53:54], v[27:28]
	ds_read_b64 v[33:34], v255 offset:672
	ds_read_b64 v[53:54], v255 offset:680
	s_waitcnt lgkmcnt(1)
	v_fma_f64 v[27:28], v[31:32], v[33:34], v[27:28]
	v_mul_f64 v[31:32], v[8:9], v[29:30]
	v_mul_f64 v[31:32], v[95:96], v[31:32]
	v_mul_f64 v[33:34], v[43:44], v[31:32]
	v_mul_f64 v[33:34], v[107:108], v[33:34]
	;; [unrolled: 27-line block ×3, first 2 shown]
	v_mul_f64 v[33:34], v[43:44], v[31:32]
	v_mul_f64 v[33:34], v[107:108], v[33:34]
	s_waitcnt lgkmcnt(0)
	v_fma_f64 v[27:28], v[33:34], v[53:54], v[27:28]
	v_mul_f64 v[33:34], v[39:40], v[31:32]
	ds_read_b64 v[53:54], v255 offset:728
	v_mul_f64 v[33:34], v[103:104], v[33:34]
	s_waitcnt lgkmcnt(0)
	v_fma_f64 v[27:28], v[33:34], v[53:54], v[27:28]
	v_mul_f64 v[33:34], v[25:26], v[31:32]
	ds_read_b64 v[53:54], v255 offset:736
	v_mul_f64 v[33:34], v[97:98], v[33:34]
	s_waitcnt lgkmcnt(0)
	v_fma_f64 v[27:28], v[33:34], v[53:54], v[27:28]
	v_mul_f64 v[33:34], v[19:20], v[31:32]
	v_mul_f64 v[31:32], v[15:16], v[31:32]
	ds_read_b64 v[53:54], v255 offset:744
	v_mul_f64 v[33:34], v[71:72], v[33:34]
	v_mul_f64 v[31:32], v[67:68], v[31:32]
	s_waitcnt lgkmcnt(0)
	v_fma_f64 v[27:28], v[33:34], v[53:54], v[27:28]
	ds_read_b64 v[33:34], v255 offset:752
	s_waitcnt lgkmcnt(0)
	v_fma_f64 v[27:28], v[31:32], v[33:34], v[27:28]
	v_mul_f64 v[31:32], v[43:44], v[29:30]
	ds_read_b64 v[33:34], v255 offset:760
	v_mul_f64 v[31:32], v[107:108], v[31:32]
	s_waitcnt lgkmcnt(0)
	v_fma_f64 v[27:28], v[31:32], v[33:34], v[27:28]
	v_mul_f64 v[31:32], v[39:40], v[29:30]
	ds_read_b64 v[33:34], v255 offset:768
	v_mul_f64 v[31:32], v[103:104], v[31:32]
	;; [unrolled: 5-line block ×3, first 2 shown]
	s_waitcnt lgkmcnt(0)
	v_fma_f64 v[27:28], v[31:32], v[33:34], v[27:28]
	v_mul_f64 v[31:32], v[19:20], v[29:30]
	v_mul_f64 v[29:30], v[15:16], v[29:30]
	ds_read_b64 v[33:34], v255 offset:784
	v_mul_f64 v[31:32], v[71:72], v[31:32]
	v_mul_f64 v[29:30], v[67:68], v[29:30]
	s_waitcnt lgkmcnt(0)
	v_fma_f64 v[27:28], v[31:32], v[33:34], v[27:28]
	ds_read_b64 v[31:32], v255 offset:792
	s_waitcnt lgkmcnt(0)
	v_fma_f64 v[27:28], v[29:30], v[31:32], v[27:28]
	ds_read_b64 v[29:30], v36 offset:128
	ds_read_b64 v[31:32], v136 offset:128
	;; [unrolled: 1-line block ×3, first 2 shown]
	s_waitcnt lgkmcnt(1)
	v_mul_f64 v[29:30], v[29:30], v[31:32]
	v_mul_f64 v[4:5], v[4:5], v[29:30]
	;; [unrolled: 1-line block ×9, first 2 shown]
	s_waitcnt lgkmcnt(0)
	v_fma_f64 v[27:28], v[33:34], v[31:32], v[27:28]
	v_mul_f64 v[31:32], v[39:40], v[4:5]
	ds_read_b64 v[33:34], v255 offset:808
	v_mul_f64 v[31:32], v[103:104], v[31:32]
	s_waitcnt lgkmcnt(0)
	v_fma_f64 v[27:28], v[33:34], v[31:32], v[27:28]
	v_mul_f64 v[31:32], v[25:26], v[4:5]
	ds_read_b64 v[33:34], v255 offset:816
	v_mul_f64 v[31:32], v[97:98], v[31:32]
	s_waitcnt lgkmcnt(0)
	v_fma_f64 v[27:28], v[33:34], v[31:32], v[27:28]
	v_mul_f64 v[31:32], v[19:20], v[4:5]
	v_mul_f64 v[4:5], v[15:16], v[4:5]
	ds_read_b64 v[33:34], v255 offset:824
	v_mul_f64 v[31:32], v[71:72], v[31:32]
	v_mul_f64 v[4:5], v[67:68], v[4:5]
	s_waitcnt lgkmcnt(0)
	v_fma_f64 v[27:28], v[33:34], v[31:32], v[27:28]
	ds_read_b64 v[31:32], v255 offset:832
	s_waitcnt lgkmcnt(0)
	v_fma_f64 v[4:5], v[4:5], v[31:32], v[27:28]
	v_mul_f64 v[27:28], v[43:44], v[6:7]
	ds_read_b64 v[31:32], v255 offset:840
	v_mul_f64 v[27:28], v[107:108], v[27:28]
	s_waitcnt lgkmcnt(0)
	v_fma_f64 v[4:5], v[27:28], v[31:32], v[4:5]
	v_mul_f64 v[27:28], v[39:40], v[6:7]
	ds_read_b64 v[31:32], v255 offset:848
	v_mul_f64 v[27:28], v[103:104], v[27:28]
	;; [unrolled: 5-line block ×3, first 2 shown]
	s_waitcnt lgkmcnt(0)
	v_fma_f64 v[4:5], v[27:28], v[31:32], v[4:5]
	v_mul_f64 v[27:28], v[19:20], v[6:7]
	v_mul_f64 v[6:7], v[15:16], v[6:7]
	ds_read_b64 v[31:32], v255 offset:864
	v_mul_f64 v[27:28], v[71:72], v[27:28]
	v_mul_f64 v[6:7], v[67:68], v[6:7]
	s_waitcnt lgkmcnt(0)
	v_fma_f64 v[4:5], v[27:28], v[31:32], v[4:5]
	ds_read_b64 v[27:28], v255 offset:872
	s_waitcnt lgkmcnt(0)
	v_fma_f64 v[4:5], v[6:7], v[27:28], v[4:5]
	v_mul_f64 v[6:7], v[8:9], v[29:30]
	ds_read_b64 v[27:28], v255 offset:880
	v_mul_f64 v[6:7], v[95:96], v[6:7]
	v_mul_f64 v[8:9], v[43:44], v[6:7]
	;; [unrolled: 1-line block ×3, first 2 shown]
	s_waitcnt lgkmcnt(0)
	v_fma_f64 v[4:5], v[8:9], v[27:28], v[4:5]
	v_mul_f64 v[8:9], v[39:40], v[6:7]
	ds_read_b64 v[27:28], v255 offset:888
	v_mul_f64 v[8:9], v[103:104], v[8:9]
	s_waitcnt lgkmcnt(0)
	v_fma_f64 v[4:5], v[8:9], v[27:28], v[4:5]
	v_mul_f64 v[8:9], v[25:26], v[6:7]
	ds_read_b64 v[27:28], v255 offset:896
	v_mul_f64 v[8:9], v[97:98], v[8:9]
	s_waitcnt lgkmcnt(0)
	v_fma_f64 v[4:5], v[8:9], v[27:28], v[4:5]
	v_mul_f64 v[8:9], v[19:20], v[6:7]
	v_mul_f64 v[6:7], v[15:16], v[6:7]
	ds_read_b64 v[27:28], v255 offset:904
	v_mul_f64 v[8:9], v[71:72], v[8:9]
	v_mul_f64 v[6:7], v[67:68], v[6:7]
	s_waitcnt lgkmcnt(0)
	v_fma_f64 v[4:5], v[8:9], v[27:28], v[4:5]
	ds_read_b64 v[8:9], v255 offset:912
	s_waitcnt lgkmcnt(0)
	v_fma_f64 v[4:5], v[6:7], v[8:9], v[4:5]
	v_mul_f64 v[6:7], v[43:44], v[2:3]
	ds_read_b64 v[8:9], v255 offset:920
	v_mul_f64 v[6:7], v[107:108], v[6:7]
	s_waitcnt lgkmcnt(0)
	v_fma_f64 v[4:5], v[6:7], v[8:9], v[4:5]
	v_mul_f64 v[6:7], v[39:40], v[2:3]
	ds_read_b64 v[8:9], v255 offset:928
	v_mul_f64 v[6:7], v[103:104], v[6:7]
	;; [unrolled: 5-line block ×3, first 2 shown]
	s_waitcnt lgkmcnt(0)
	v_fma_f64 v[4:5], v[6:7], v[8:9], v[4:5]
	v_mul_f64 v[6:7], v[19:20], v[2:3]
	v_mul_f64 v[2:3], v[15:16], v[2:3]
	ds_read_b64 v[8:9], v255 offset:944
	v_mul_f64 v[6:7], v[71:72], v[6:7]
	v_mul_f64 v[2:3], v[67:68], v[2:3]
	s_waitcnt lgkmcnt(0)
	v_fma_f64 v[4:5], v[6:7], v[8:9], v[4:5]
	ds_read_b64 v[6:7], v255 offset:952
	ds_read_b64 v[8:9], v255 offset:960
	s_waitcnt lgkmcnt(1)
	v_fma_f64 v[2:3], v[2:3], v[6:7], v[4:5]
	v_mul_f64 v[4:5], v[47:48], v[29:30]
	v_mul_f64 v[4:5], v[65:66], v[4:5]
	;; [unrolled: 1-line block ×4, first 2 shown]
	s_waitcnt lgkmcnt(0)
	v_fma_f64 v[2:3], v[6:7], v[8:9], v[2:3]
	v_mul_f64 v[6:7], v[39:40], v[4:5]
	ds_read_b64 v[8:9], v255 offset:968
	v_mul_f64 v[6:7], v[103:104], v[6:7]
	s_waitcnt lgkmcnt(0)
	v_fma_f64 v[2:3], v[6:7], v[8:9], v[2:3]
	v_mul_f64 v[6:7], v[25:26], v[4:5]
	ds_read_b64 v[8:9], v255 offset:976
	v_mul_f64 v[6:7], v[97:98], v[6:7]
	s_waitcnt lgkmcnt(0)
	v_fma_f64 v[2:3], v[6:7], v[8:9], v[2:3]
	v_mul_f64 v[6:7], v[19:20], v[4:5]
	v_mul_f64 v[4:5], v[15:16], v[4:5]
	ds_read_b64 v[8:9], v255 offset:984
	v_mul_f64 v[6:7], v[71:72], v[6:7]
	v_mul_f64 v[4:5], v[67:68], v[4:5]
	s_waitcnt lgkmcnt(0)
	v_fma_f64 v[2:3], v[6:7], v[8:9], v[2:3]
	ds_read_b64 v[6:7], v255 offset:992
	s_waitcnt lgkmcnt(0)
	v_fma_f64 v[2:3], v[4:5], v[6:7], v[2:3]
	global_store_dwordx2 v[134:135], v[2:3], off
	ds_read_b64 v[43:44], v131
	ds_read_b64 v[39:40], v131 offset:32
	ds_read_b64 v[25:26], v131 offset:64
	;; [unrolled: 1-line block ×4, first 2 shown]
	ds_read_b64 v[2:3], v132
	ds_read_b64 v[4:5], v255 offset:1032
	ds_read_b64 v[6:7], v132 offset:32
	;; [unrolled: 1-line block ×9, first 2 shown]
	ds_read_b64 v[57:58], v36
	ds_read_b64 v[61:62], v36 offset:32
	ds_read_b64 v[65:66], v136
	ds_read_b64 v[67:68], v136 offset:32
	;; [unrolled: 2-line block ×3, first 2 shown]
	ds_read_b64 v[75:76], v255 offset:16
	ds_read_b64 v[79:80], v255 offset:24
	;; [unrolled: 1-line block ×6, first 2 shown]
	s_waitcnt lgkmcnt(9)
	v_mul_f64 v[57:58], v[57:58], v[65:66]
	s_waitcnt lgkmcnt(8)
	v_mul_f64 v[61:62], v[61:62], v[67:68]
	v_mul_f64 v[65:66], v[2:3], v[57:58]
	;; [unrolled: 1-line block ×5, first 2 shown]
	s_waitcnt lgkmcnt(7)
	v_fma_f64 v[69:70], v[71:72], v[69:70], 0
	v_mul_f64 v[71:72], v[39:40], v[65:66]
	v_mul_f64 v[71:72], v[89:90], v[71:72]
	s_waitcnt lgkmcnt(6)
	v_fma_f64 v[69:70], v[73:74], v[71:72], v[69:70]
	v_mul_f64 v[71:72], v[25:26], v[65:66]
	ds_read_b64 v[73:74], v255 offset:64
	v_mul_f64 v[71:72], v[85:86], v[71:72]
	s_waitcnt lgkmcnt(6)
	v_fma_f64 v[69:70], v[75:76], v[71:72], v[69:70]
	v_mul_f64 v[71:72], v[19:20], v[65:66]
	v_mul_f64 v[65:66], v[15:16], v[65:66]
	;; [unrolled: 1-line block ×4, first 2 shown]
	s_waitcnt lgkmcnt(5)
	v_fma_f64 v[69:70], v[79:80], v[71:72], v[69:70]
	s_waitcnt lgkmcnt(4)
	v_fma_f64 v[65:66], v[65:66], v[83:84], v[69:70]
	v_mul_f64 v[69:70], v[6:7], v[57:58]
	v_mul_f64 v[69:70], v[8:9], v[69:70]
	;; [unrolled: 1-line block ×4, first 2 shown]
	s_waitcnt lgkmcnt(3)
	v_fma_f64 v[65:66], v[71:72], v[87:88], v[65:66]
	v_mul_f64 v[71:72], v[39:40], v[69:70]
	v_mul_f64 v[71:72], v[89:90], v[71:72]
	s_waitcnt lgkmcnt(2)
	v_fma_f64 v[65:66], v[71:72], v[91:92], v[65:66]
	v_mul_f64 v[71:72], v[25:26], v[69:70]
	v_mul_f64 v[71:72], v[85:86], v[71:72]
	;; [unrolled: 4-line block ×3, first 2 shown]
	v_mul_f64 v[71:72], v[81:82], v[71:72]
	v_mul_f64 v[69:70], v[77:78], v[69:70]
	s_waitcnt lgkmcnt(0)
	v_fma_f64 v[65:66], v[71:72], v[73:74], v[65:66]
	ds_read_b64 v[71:72], v255 offset:72
	ds_read_b64 v[73:74], v255 offset:80
	s_waitcnt lgkmcnt(1)
	v_fma_f64 v[65:66], v[69:70], v[71:72], v[65:66]
	v_mul_f64 v[69:70], v[31:32], v[57:58]
	v_mul_f64 v[69:70], v[33:34], v[69:70]
	;; [unrolled: 1-line block ×4, first 2 shown]
	s_waitcnt lgkmcnt(0)
	v_fma_f64 v[65:66], v[71:72], v[73:74], v[65:66]
	v_mul_f64 v[71:72], v[39:40], v[69:70]
	ds_read_b64 v[73:74], v255 offset:88
	v_mul_f64 v[71:72], v[89:90], v[71:72]
	s_waitcnt lgkmcnt(0)
	v_fma_f64 v[65:66], v[71:72], v[73:74], v[65:66]
	v_mul_f64 v[71:72], v[25:26], v[69:70]
	ds_read_b64 v[73:74], v255 offset:96
	v_mul_f64 v[71:72], v[85:86], v[71:72]
	s_waitcnt lgkmcnt(0)
	v_fma_f64 v[65:66], v[71:72], v[73:74], v[65:66]
	v_mul_f64 v[71:72], v[19:20], v[69:70]
	v_mul_f64 v[69:70], v[15:16], v[69:70]
	ds_read_b64 v[73:74], v255 offset:104
	v_mul_f64 v[71:72], v[81:82], v[71:72]
	v_mul_f64 v[69:70], v[77:78], v[69:70]
	s_waitcnt lgkmcnt(0)
	v_fma_f64 v[65:66], v[71:72], v[73:74], v[65:66]
	ds_read_b64 v[71:72], v255 offset:112
	ds_read_b64 v[73:74], v255 offset:120
	s_waitcnt lgkmcnt(1)
	v_fma_f64 v[65:66], v[69:70], v[71:72], v[65:66]
	v_mul_f64 v[69:70], v[27:28], v[57:58]
	v_mul_f64 v[57:58], v[47:48], v[57:58]
	;; [unrolled: 1-line block ×6, first 2 shown]
	s_waitcnt lgkmcnt(0)
	v_fma_f64 v[65:66], v[71:72], v[73:74], v[65:66]
	v_mul_f64 v[71:72], v[39:40], v[69:70]
	ds_read_b64 v[73:74], v255 offset:128
	v_mul_f64 v[71:72], v[89:90], v[71:72]
	s_waitcnt lgkmcnt(0)
	v_fma_f64 v[65:66], v[71:72], v[73:74], v[65:66]
	v_mul_f64 v[71:72], v[25:26], v[69:70]
	ds_read_b64 v[73:74], v255 offset:136
	v_mul_f64 v[71:72], v[85:86], v[71:72]
	s_waitcnt lgkmcnt(0)
	v_fma_f64 v[65:66], v[71:72], v[73:74], v[65:66]
	v_mul_f64 v[71:72], v[19:20], v[69:70]
	v_mul_f64 v[69:70], v[15:16], v[69:70]
	ds_read_b64 v[73:74], v255 offset:144
	v_mul_f64 v[71:72], v[81:82], v[71:72]
	v_mul_f64 v[69:70], v[77:78], v[69:70]
	s_waitcnt lgkmcnt(0)
	v_fma_f64 v[65:66], v[71:72], v[73:74], v[65:66]
	ds_read_b64 v[71:72], v255 offset:152
	s_waitcnt lgkmcnt(0)
	v_fma_f64 v[65:66], v[69:70], v[71:72], v[65:66]
	v_mul_f64 v[69:70], v[43:44], v[57:58]
	ds_read_b64 v[71:72], v255 offset:160
	v_mul_f64 v[69:70], v[93:94], v[69:70]
	s_waitcnt lgkmcnt(0)
	v_fma_f64 v[65:66], v[69:70], v[71:72], v[65:66]
	v_mul_f64 v[69:70], v[39:40], v[57:58]
	ds_read_b64 v[71:72], v255 offset:168
	v_mul_f64 v[69:70], v[89:90], v[69:70]
	;; [unrolled: 5-line block ×3, first 2 shown]
	s_waitcnt lgkmcnt(0)
	v_fma_f64 v[65:66], v[69:70], v[71:72], v[65:66]
	v_mul_f64 v[69:70], v[19:20], v[57:58]
	v_mul_f64 v[57:58], v[15:16], v[57:58]
	ds_read_b64 v[71:72], v255 offset:184
	v_mul_f64 v[69:70], v[81:82], v[69:70]
	v_mul_f64 v[57:58], v[77:78], v[57:58]
	s_waitcnt lgkmcnt(0)
	v_fma_f64 v[65:66], v[69:70], v[71:72], v[65:66]
	ds_read_b64 v[69:70], v255 offset:192
	s_waitcnt lgkmcnt(0)
	v_fma_f64 v[57:58], v[57:58], v[69:70], v[65:66]
	v_mul_f64 v[65:66], v[2:3], v[61:62]
	ds_read_b64 v[69:70], v255 offset:200
	v_mul_f64 v[65:66], v[4:5], v[65:66]
	v_mul_f64 v[67:68], v[43:44], v[65:66]
	v_mul_f64 v[67:68], v[93:94], v[67:68]
	s_waitcnt lgkmcnt(0)
	v_fma_f64 v[57:58], v[69:70], v[67:68], v[57:58]
	v_mul_f64 v[67:68], v[39:40], v[65:66]
	ds_read_b64 v[69:70], v255 offset:208
	v_mul_f64 v[67:68], v[89:90], v[67:68]
	s_waitcnt lgkmcnt(0)
	v_fma_f64 v[57:58], v[69:70], v[67:68], v[57:58]
	v_mul_f64 v[67:68], v[25:26], v[65:66]
	ds_read_b64 v[69:70], v255 offset:216
	v_mul_f64 v[67:68], v[85:86], v[67:68]
	s_waitcnt lgkmcnt(0)
	v_fma_f64 v[57:58], v[69:70], v[67:68], v[57:58]
	v_mul_f64 v[67:68], v[19:20], v[65:66]
	v_mul_f64 v[65:66], v[15:16], v[65:66]
	ds_read_b64 v[69:70], v255 offset:224
	v_mul_f64 v[67:68], v[81:82], v[67:68]
	v_mul_f64 v[65:66], v[77:78], v[65:66]
	s_waitcnt lgkmcnt(0)
	v_fma_f64 v[57:58], v[69:70], v[67:68], v[57:58]
	ds_read_b64 v[67:68], v255 offset:232
	ds_read_b64 v[69:70], v255 offset:240
	s_waitcnt lgkmcnt(1)
	v_fma_f64 v[57:58], v[65:66], v[67:68], v[57:58]
	v_mul_f64 v[65:66], v[6:7], v[61:62]
	v_mul_f64 v[65:66], v[8:9], v[65:66]
	v_mul_f64 v[67:68], v[43:44], v[65:66]
	v_mul_f64 v[67:68], v[93:94], v[67:68]
	s_waitcnt lgkmcnt(0)
	v_fma_f64 v[57:58], v[67:68], v[69:70], v[57:58]
	v_mul_f64 v[67:68], v[39:40], v[65:66]
	ds_read_b64 v[69:70], v255 offset:248
	v_mul_f64 v[67:68], v[89:90], v[67:68]
	s_waitcnt lgkmcnt(0)
	v_fma_f64 v[57:58], v[67:68], v[69:70], v[57:58]
	v_mul_f64 v[67:68], v[25:26], v[65:66]
	ds_read_b64 v[69:70], v255 offset:256
	v_mul_f64 v[67:68], v[85:86], v[67:68]
	s_waitcnt lgkmcnt(0)
	v_fma_f64 v[57:58], v[67:68], v[69:70], v[57:58]
	v_mul_f64 v[67:68], v[19:20], v[65:66]
	v_mul_f64 v[65:66], v[15:16], v[65:66]
	ds_read_b64 v[69:70], v255 offset:264
	v_mul_f64 v[67:68], v[81:82], v[67:68]
	v_mul_f64 v[65:66], v[77:78], v[65:66]
	s_waitcnt lgkmcnt(0)
	v_fma_f64 v[57:58], v[67:68], v[69:70], v[57:58]
	ds_read_b64 v[67:68], v255 offset:272
	ds_read_b64 v[69:70], v255 offset:280
	s_waitcnt lgkmcnt(1)
	v_fma_f64 v[57:58], v[65:66], v[67:68], v[57:58]
	v_mul_f64 v[65:66], v[31:32], v[61:62]
	v_mul_f64 v[65:66], v[33:34], v[65:66]
	v_mul_f64 v[67:68], v[43:44], v[65:66]
	v_mul_f64 v[67:68], v[93:94], v[67:68]
	s_waitcnt lgkmcnt(0)
	v_fma_f64 v[57:58], v[67:68], v[69:70], v[57:58]
	v_mul_f64 v[67:68], v[39:40], v[65:66]
	ds_read_b64 v[69:70], v255 offset:288
	v_mul_f64 v[67:68], v[89:90], v[67:68]
	s_waitcnt lgkmcnt(0)
	v_fma_f64 v[57:58], v[67:68], v[69:70], v[57:58]
	v_mul_f64 v[67:68], v[25:26], v[65:66]
	ds_read_b64 v[69:70], v255 offset:296
	v_mul_f64 v[67:68], v[85:86], v[67:68]
	s_waitcnt lgkmcnt(0)
	v_fma_f64 v[57:58], v[67:68], v[69:70], v[57:58]
	v_mul_f64 v[67:68], v[19:20], v[65:66]
	v_mul_f64 v[65:66], v[15:16], v[65:66]
	ds_read_b64 v[69:70], v255 offset:304
	v_mul_f64 v[67:68], v[81:82], v[67:68]
	v_mul_f64 v[65:66], v[77:78], v[65:66]
	s_waitcnt lgkmcnt(0)
	v_fma_f64 v[57:58], v[67:68], v[69:70], v[57:58]
	ds_read_b64 v[67:68], v255 offset:312
	ds_read_b64 v[69:70], v255 offset:320
	s_waitcnt lgkmcnt(1)
	v_fma_f64 v[57:58], v[65:66], v[67:68], v[57:58]
	v_mul_f64 v[65:66], v[27:28], v[61:62]
	v_mul_f64 v[61:62], v[47:48], v[61:62]
	v_mul_f64 v[65:66], v[29:30], v[65:66]
	;; [unrolled: 1-line block ×5, first 2 shown]
	s_waitcnt lgkmcnt(0)
	v_fma_f64 v[57:58], v[67:68], v[69:70], v[57:58]
	v_mul_f64 v[67:68], v[39:40], v[65:66]
	ds_read_b64 v[69:70], v255 offset:328
	v_mul_f64 v[67:68], v[89:90], v[67:68]
	s_waitcnt lgkmcnt(0)
	v_fma_f64 v[57:58], v[67:68], v[69:70], v[57:58]
	v_mul_f64 v[67:68], v[25:26], v[65:66]
	ds_read_b64 v[69:70], v255 offset:336
	v_mul_f64 v[67:68], v[85:86], v[67:68]
	s_waitcnt lgkmcnt(0)
	v_fma_f64 v[57:58], v[67:68], v[69:70], v[57:58]
	v_mul_f64 v[67:68], v[19:20], v[65:66]
	v_mul_f64 v[65:66], v[15:16], v[65:66]
	ds_read_b64 v[69:70], v255 offset:344
	v_mul_f64 v[67:68], v[81:82], v[67:68]
	v_mul_f64 v[65:66], v[77:78], v[65:66]
	s_waitcnt lgkmcnt(0)
	v_fma_f64 v[57:58], v[67:68], v[69:70], v[57:58]
	ds_read_b64 v[67:68], v255 offset:352
	s_waitcnt lgkmcnt(0)
	v_fma_f64 v[57:58], v[65:66], v[67:68], v[57:58]
	v_mul_f64 v[65:66], v[43:44], v[61:62]
	ds_read_b64 v[67:68], v255 offset:360
	v_mul_f64 v[65:66], v[93:94], v[65:66]
	s_waitcnt lgkmcnt(0)
	v_fma_f64 v[57:58], v[65:66], v[67:68], v[57:58]
	v_mul_f64 v[65:66], v[39:40], v[61:62]
	ds_read_b64 v[67:68], v255 offset:368
	v_mul_f64 v[65:66], v[89:90], v[65:66]
	;; [unrolled: 5-line block ×3, first 2 shown]
	s_waitcnt lgkmcnt(0)
	v_fma_f64 v[57:58], v[65:66], v[67:68], v[57:58]
	v_mul_f64 v[65:66], v[19:20], v[61:62]
	v_mul_f64 v[61:62], v[15:16], v[61:62]
	ds_read_b64 v[67:68], v255 offset:384
	v_mul_f64 v[65:66], v[81:82], v[65:66]
	v_mul_f64 v[61:62], v[77:78], v[61:62]
	s_waitcnt lgkmcnt(0)
	v_fma_f64 v[57:58], v[65:66], v[67:68], v[57:58]
	ds_read_b64 v[65:66], v255 offset:392
	s_waitcnt lgkmcnt(0)
	v_fma_f64 v[57:58], v[61:62], v[65:66], v[57:58]
	ds_read_b64 v[61:62], v36 offset:64
	ds_read_b64 v[65:66], v136 offset:64
	;; [unrolled: 1-line block ×3, first 2 shown]
	s_waitcnt lgkmcnt(1)
	v_mul_f64 v[61:62], v[61:62], v[65:66]
	v_mul_f64 v[65:66], v[2:3], v[61:62]
	;; [unrolled: 1-line block ×5, first 2 shown]
	s_waitcnt lgkmcnt(0)
	v_fma_f64 v[57:58], v[69:70], v[67:68], v[57:58]
	v_mul_f64 v[67:68], v[39:40], v[65:66]
	ds_read_b64 v[69:70], v255 offset:408
	v_mul_f64 v[67:68], v[89:90], v[67:68]
	s_waitcnt lgkmcnt(0)
	v_fma_f64 v[57:58], v[69:70], v[67:68], v[57:58]
	v_mul_f64 v[67:68], v[25:26], v[65:66]
	ds_read_b64 v[69:70], v255 offset:416
	v_mul_f64 v[67:68], v[85:86], v[67:68]
	s_waitcnt lgkmcnt(0)
	v_fma_f64 v[57:58], v[69:70], v[67:68], v[57:58]
	v_mul_f64 v[67:68], v[19:20], v[65:66]
	v_mul_f64 v[65:66], v[15:16], v[65:66]
	ds_read_b64 v[69:70], v255 offset:424
	v_mul_f64 v[67:68], v[81:82], v[67:68]
	v_mul_f64 v[65:66], v[77:78], v[65:66]
	s_waitcnt lgkmcnt(0)
	v_fma_f64 v[57:58], v[69:70], v[67:68], v[57:58]
	ds_read_b64 v[67:68], v255 offset:432
	ds_read_b64 v[69:70], v255 offset:440
	s_waitcnt lgkmcnt(1)
	v_fma_f64 v[57:58], v[65:66], v[67:68], v[57:58]
	v_mul_f64 v[65:66], v[6:7], v[61:62]
	v_mul_f64 v[65:66], v[8:9], v[65:66]
	v_mul_f64 v[67:68], v[43:44], v[65:66]
	v_mul_f64 v[67:68], v[93:94], v[67:68]
	s_waitcnt lgkmcnt(0)
	v_fma_f64 v[57:58], v[67:68], v[69:70], v[57:58]
	v_mul_f64 v[67:68], v[39:40], v[65:66]
	ds_read_b64 v[69:70], v255 offset:448
	v_mul_f64 v[67:68], v[89:90], v[67:68]
	s_waitcnt lgkmcnt(0)
	v_fma_f64 v[57:58], v[67:68], v[69:70], v[57:58]
	v_mul_f64 v[67:68], v[25:26], v[65:66]
	ds_read_b64 v[69:70], v255 offset:456
	v_mul_f64 v[67:68], v[85:86], v[67:68]
	s_waitcnt lgkmcnt(0)
	v_fma_f64 v[57:58], v[67:68], v[69:70], v[57:58]
	v_mul_f64 v[67:68], v[19:20], v[65:66]
	v_mul_f64 v[65:66], v[15:16], v[65:66]
	ds_read_b64 v[69:70], v255 offset:464
	v_mul_f64 v[67:68], v[81:82], v[67:68]
	v_mul_f64 v[65:66], v[77:78], v[65:66]
	s_waitcnt lgkmcnt(0)
	v_fma_f64 v[57:58], v[67:68], v[69:70], v[57:58]
	ds_read_b64 v[67:68], v255 offset:472
	ds_read_b64 v[69:70], v255 offset:480
	s_waitcnt lgkmcnt(1)
	v_fma_f64 v[57:58], v[65:66], v[67:68], v[57:58]
	v_mul_f64 v[65:66], v[31:32], v[61:62]
	v_mul_f64 v[65:66], v[33:34], v[65:66]
	v_mul_f64 v[67:68], v[43:44], v[65:66]
	v_mul_f64 v[67:68], v[93:94], v[67:68]
	;; [unrolled: 27-line block ×3, first 2 shown]
	v_mul_f64 v[67:68], v[43:44], v[65:66]
	v_mul_f64 v[67:68], v[93:94], v[67:68]
	s_waitcnt lgkmcnt(0)
	v_fma_f64 v[57:58], v[67:68], v[69:70], v[57:58]
	v_mul_f64 v[67:68], v[39:40], v[65:66]
	ds_read_b64 v[69:70], v255 offset:528
	v_mul_f64 v[67:68], v[89:90], v[67:68]
	s_waitcnt lgkmcnt(0)
	v_fma_f64 v[57:58], v[67:68], v[69:70], v[57:58]
	v_mul_f64 v[67:68], v[25:26], v[65:66]
	ds_read_b64 v[69:70], v255 offset:536
	v_mul_f64 v[67:68], v[85:86], v[67:68]
	s_waitcnt lgkmcnt(0)
	v_fma_f64 v[57:58], v[67:68], v[69:70], v[57:58]
	v_mul_f64 v[67:68], v[19:20], v[65:66]
	v_mul_f64 v[65:66], v[15:16], v[65:66]
	ds_read_b64 v[69:70], v255 offset:544
	v_mul_f64 v[67:68], v[81:82], v[67:68]
	v_mul_f64 v[65:66], v[77:78], v[65:66]
	s_waitcnt lgkmcnt(0)
	v_fma_f64 v[57:58], v[67:68], v[69:70], v[57:58]
	ds_read_b64 v[67:68], v255 offset:552
	s_waitcnt lgkmcnt(0)
	v_fma_f64 v[57:58], v[65:66], v[67:68], v[57:58]
	v_mul_f64 v[65:66], v[43:44], v[61:62]
	ds_read_b64 v[67:68], v255 offset:560
	v_mul_f64 v[65:66], v[93:94], v[65:66]
	s_waitcnt lgkmcnt(0)
	v_fma_f64 v[57:58], v[65:66], v[67:68], v[57:58]
	v_mul_f64 v[65:66], v[39:40], v[61:62]
	ds_read_b64 v[67:68], v255 offset:568
	v_mul_f64 v[65:66], v[89:90], v[65:66]
	;; [unrolled: 5-line block ×3, first 2 shown]
	s_waitcnt lgkmcnt(0)
	v_fma_f64 v[57:58], v[65:66], v[67:68], v[57:58]
	v_mul_f64 v[65:66], v[19:20], v[61:62]
	v_mul_f64 v[61:62], v[15:16], v[61:62]
	ds_read_b64 v[67:68], v255 offset:584
	v_mul_f64 v[65:66], v[81:82], v[65:66]
	v_mul_f64 v[61:62], v[77:78], v[61:62]
	s_waitcnt lgkmcnt(0)
	v_fma_f64 v[57:58], v[65:66], v[67:68], v[57:58]
	ds_read_b64 v[65:66], v255 offset:592
	s_waitcnt lgkmcnt(0)
	v_fma_f64 v[57:58], v[61:62], v[65:66], v[57:58]
	ds_read_b64 v[61:62], v36 offset:96
	ds_read_b64 v[65:66], v136 offset:96
	;; [unrolled: 1-line block ×3, first 2 shown]
	s_waitcnt lgkmcnt(1)
	v_mul_f64 v[61:62], v[61:62], v[65:66]
	v_mul_f64 v[65:66], v[2:3], v[61:62]
	;; [unrolled: 1-line block ×5, first 2 shown]
	s_waitcnt lgkmcnt(0)
	v_fma_f64 v[57:58], v[69:70], v[67:68], v[57:58]
	v_mul_f64 v[67:68], v[39:40], v[65:66]
	ds_read_b64 v[69:70], v255 offset:608
	v_mul_f64 v[67:68], v[89:90], v[67:68]
	s_waitcnt lgkmcnt(0)
	v_fma_f64 v[57:58], v[69:70], v[67:68], v[57:58]
	v_mul_f64 v[67:68], v[25:26], v[65:66]
	ds_read_b64 v[69:70], v255 offset:616
	v_mul_f64 v[67:68], v[85:86], v[67:68]
	s_waitcnt lgkmcnt(0)
	v_fma_f64 v[57:58], v[69:70], v[67:68], v[57:58]
	v_mul_f64 v[67:68], v[19:20], v[65:66]
	v_mul_f64 v[65:66], v[15:16], v[65:66]
	ds_read_b64 v[69:70], v255 offset:624
	v_mul_f64 v[67:68], v[81:82], v[67:68]
	v_mul_f64 v[65:66], v[77:78], v[65:66]
	s_waitcnt lgkmcnt(0)
	v_fma_f64 v[57:58], v[69:70], v[67:68], v[57:58]
	ds_read_b64 v[67:68], v255 offset:632
	ds_read_b64 v[69:70], v255 offset:640
	s_waitcnt lgkmcnt(1)
	v_fma_f64 v[57:58], v[65:66], v[67:68], v[57:58]
	v_mul_f64 v[65:66], v[6:7], v[61:62]
	v_mul_f64 v[65:66], v[8:9], v[65:66]
	v_mul_f64 v[67:68], v[43:44], v[65:66]
	v_mul_f64 v[67:68], v[93:94], v[67:68]
	s_waitcnt lgkmcnt(0)
	v_fma_f64 v[57:58], v[67:68], v[69:70], v[57:58]
	v_mul_f64 v[67:68], v[39:40], v[65:66]
	ds_read_b64 v[69:70], v255 offset:648
	v_mul_f64 v[67:68], v[89:90], v[67:68]
	s_waitcnt lgkmcnt(0)
	v_fma_f64 v[57:58], v[67:68], v[69:70], v[57:58]
	v_mul_f64 v[67:68], v[25:26], v[65:66]
	ds_read_b64 v[69:70], v255 offset:656
	v_mul_f64 v[67:68], v[85:86], v[67:68]
	s_waitcnt lgkmcnt(0)
	v_fma_f64 v[57:58], v[67:68], v[69:70], v[57:58]
	v_mul_f64 v[67:68], v[19:20], v[65:66]
	v_mul_f64 v[65:66], v[15:16], v[65:66]
	ds_read_b64 v[69:70], v255 offset:664
	v_mul_f64 v[67:68], v[81:82], v[67:68]
	v_mul_f64 v[65:66], v[77:78], v[65:66]
	s_waitcnt lgkmcnt(0)
	v_fma_f64 v[57:58], v[67:68], v[69:70], v[57:58]
	ds_read_b64 v[67:68], v255 offset:672
	ds_read_b64 v[69:70], v255 offset:680
	s_waitcnt lgkmcnt(1)
	v_fma_f64 v[57:58], v[65:66], v[67:68], v[57:58]
	v_mul_f64 v[65:66], v[31:32], v[61:62]
	v_mul_f64 v[65:66], v[33:34], v[65:66]
	v_mul_f64 v[67:68], v[43:44], v[65:66]
	v_mul_f64 v[67:68], v[93:94], v[67:68]
	;; [unrolled: 27-line block ×3, first 2 shown]
	v_mul_f64 v[67:68], v[43:44], v[65:66]
	v_mul_f64 v[67:68], v[93:94], v[67:68]
	s_waitcnt lgkmcnt(0)
	v_fma_f64 v[57:58], v[67:68], v[69:70], v[57:58]
	v_mul_f64 v[67:68], v[39:40], v[65:66]
	ds_read_b64 v[69:70], v255 offset:728
	v_mul_f64 v[67:68], v[89:90], v[67:68]
	s_waitcnt lgkmcnt(0)
	v_fma_f64 v[57:58], v[67:68], v[69:70], v[57:58]
	v_mul_f64 v[67:68], v[25:26], v[65:66]
	ds_read_b64 v[69:70], v255 offset:736
	v_mul_f64 v[67:68], v[85:86], v[67:68]
	s_waitcnt lgkmcnt(0)
	v_fma_f64 v[57:58], v[67:68], v[69:70], v[57:58]
	v_mul_f64 v[67:68], v[19:20], v[65:66]
	v_mul_f64 v[65:66], v[15:16], v[65:66]
	ds_read_b64 v[69:70], v255 offset:744
	v_mul_f64 v[67:68], v[81:82], v[67:68]
	v_mul_f64 v[65:66], v[77:78], v[65:66]
	s_waitcnt lgkmcnt(0)
	v_fma_f64 v[57:58], v[67:68], v[69:70], v[57:58]
	ds_read_b64 v[67:68], v255 offset:752
	s_waitcnt lgkmcnt(0)
	v_fma_f64 v[57:58], v[65:66], v[67:68], v[57:58]
	v_mul_f64 v[65:66], v[43:44], v[61:62]
	ds_read_b64 v[67:68], v255 offset:760
	v_mul_f64 v[65:66], v[93:94], v[65:66]
	s_waitcnt lgkmcnt(0)
	v_fma_f64 v[57:58], v[65:66], v[67:68], v[57:58]
	v_mul_f64 v[65:66], v[39:40], v[61:62]
	ds_read_b64 v[67:68], v255 offset:768
	v_mul_f64 v[65:66], v[89:90], v[65:66]
	;; [unrolled: 5-line block ×3, first 2 shown]
	s_waitcnt lgkmcnt(0)
	v_fma_f64 v[57:58], v[65:66], v[67:68], v[57:58]
	v_mul_f64 v[65:66], v[19:20], v[61:62]
	v_mul_f64 v[61:62], v[15:16], v[61:62]
	ds_read_b64 v[67:68], v255 offset:784
	v_mul_f64 v[65:66], v[81:82], v[65:66]
	v_mul_f64 v[61:62], v[77:78], v[61:62]
	s_waitcnt lgkmcnt(0)
	v_fma_f64 v[57:58], v[65:66], v[67:68], v[57:58]
	ds_read_b64 v[65:66], v255 offset:792
	s_waitcnt lgkmcnt(0)
	v_fma_f64 v[57:58], v[61:62], v[65:66], v[57:58]
	ds_read_b64 v[61:62], v36 offset:128
	ds_read_b64 v[65:66], v136 offset:128
	s_waitcnt lgkmcnt(0)
	v_mul_f64 v[61:62], v[61:62], v[65:66]
	ds_read_b64 v[65:66], v255 offset:800
	v_mul_f64 v[2:3], v[2:3], v[61:62]
	v_mul_f64 v[2:3], v[4:5], v[2:3]
	;; [unrolled: 1-line block ×4, first 2 shown]
	s_waitcnt lgkmcnt(0)
	v_fma_f64 v[4:5], v[65:66], v[4:5], v[57:58]
	v_mul_f64 v[57:58], v[39:40], v[2:3]
	ds_read_b64 v[65:66], v255 offset:808
	v_mul_f64 v[57:58], v[89:90], v[57:58]
	s_waitcnt lgkmcnt(0)
	v_fma_f64 v[4:5], v[65:66], v[57:58], v[4:5]
	v_mul_f64 v[57:58], v[25:26], v[2:3]
	ds_read_b64 v[65:66], v255 offset:816
	v_mul_f64 v[57:58], v[85:86], v[57:58]
	s_waitcnt lgkmcnt(0)
	v_fma_f64 v[4:5], v[65:66], v[57:58], v[4:5]
	v_mul_f64 v[57:58], v[19:20], v[2:3]
	v_mul_f64 v[2:3], v[15:16], v[2:3]
	ds_read_b64 v[65:66], v255 offset:824
	v_mul_f64 v[57:58], v[81:82], v[57:58]
	v_mul_f64 v[2:3], v[77:78], v[2:3]
	s_waitcnt lgkmcnt(0)
	v_fma_f64 v[4:5], v[65:66], v[57:58], v[4:5]
	ds_read_b64 v[57:58], v255 offset:832
	s_waitcnt lgkmcnt(0)
	v_fma_f64 v[2:3], v[2:3], v[57:58], v[4:5]
	v_mul_f64 v[4:5], v[6:7], v[61:62]
	v_mul_f64 v[4:5], v[8:9], v[4:5]
	ds_read_b64 v[8:9], v255 offset:840
	v_mul_f64 v[6:7], v[43:44], v[4:5]
	v_mul_f64 v[6:7], v[93:94], v[6:7]
	s_waitcnt lgkmcnt(0)
	v_fma_f64 v[2:3], v[6:7], v[8:9], v[2:3]
	v_mul_f64 v[6:7], v[39:40], v[4:5]
	ds_read_b64 v[8:9], v255 offset:848
	v_mul_f64 v[6:7], v[89:90], v[6:7]
	s_waitcnt lgkmcnt(0)
	v_fma_f64 v[2:3], v[6:7], v[8:9], v[2:3]
	v_mul_f64 v[6:7], v[25:26], v[4:5]
	ds_read_b64 v[8:9], v255 offset:856
	v_mul_f64 v[6:7], v[85:86], v[6:7]
	s_waitcnt lgkmcnt(0)
	v_fma_f64 v[2:3], v[6:7], v[8:9], v[2:3]
	v_mul_f64 v[6:7], v[19:20], v[4:5]
	v_mul_f64 v[4:5], v[15:16], v[4:5]
	ds_read_b64 v[8:9], v255 offset:864
	v_mul_f64 v[6:7], v[81:82], v[6:7]
	v_mul_f64 v[4:5], v[77:78], v[4:5]
	s_waitcnt lgkmcnt(0)
	v_fma_f64 v[2:3], v[6:7], v[8:9], v[2:3]
	ds_read_b64 v[6:7], v255 offset:872
	ds_read_b64 v[8:9], v255 offset:880
	s_waitcnt lgkmcnt(1)
	v_fma_f64 v[2:3], v[4:5], v[6:7], v[2:3]
	v_mul_f64 v[4:5], v[31:32], v[61:62]
	v_mul_f64 v[4:5], v[33:34], v[4:5]
	v_mul_f64 v[6:7], v[43:44], v[4:5]
	v_mul_f64 v[6:7], v[93:94], v[6:7]
	s_waitcnt lgkmcnt(0)
	v_fma_f64 v[2:3], v[6:7], v[8:9], v[2:3]
	v_mul_f64 v[6:7], v[39:40], v[4:5]
	ds_read_b64 v[8:9], v255 offset:888
	v_mul_f64 v[6:7], v[89:90], v[6:7]
	s_waitcnt lgkmcnt(0)
	v_fma_f64 v[2:3], v[6:7], v[8:9], v[2:3]
	v_mul_f64 v[6:7], v[25:26], v[4:5]
	ds_read_b64 v[8:9], v255 offset:896
	v_mul_f64 v[6:7], v[85:86], v[6:7]
	s_waitcnt lgkmcnt(0)
	v_fma_f64 v[2:3], v[6:7], v[8:9], v[2:3]
	v_mul_f64 v[6:7], v[19:20], v[4:5]
	v_mul_f64 v[4:5], v[15:16], v[4:5]
	ds_read_b64 v[8:9], v255 offset:904
	v_mul_f64 v[6:7], v[81:82], v[6:7]
	v_mul_f64 v[4:5], v[77:78], v[4:5]
	s_waitcnt lgkmcnt(0)
	v_fma_f64 v[2:3], v[6:7], v[8:9], v[2:3]
	ds_read_b64 v[6:7], v255 offset:912
	ds_read_b64 v[8:9], v255 offset:920
	s_waitcnt lgkmcnt(1)
	v_fma_f64 v[2:3], v[4:5], v[6:7], v[2:3]
	v_mul_f64 v[4:5], v[27:28], v[61:62]
	v_mul_f64 v[4:5], v[29:30], v[4:5]
	;; [unrolled: 27-line block ×3, first 2 shown]
	v_mul_f64 v[6:7], v[43:44], v[4:5]
	v_mul_f64 v[6:7], v[93:94], v[6:7]
	s_waitcnt lgkmcnt(0)
	v_fma_f64 v[2:3], v[6:7], v[8:9], v[2:3]
	v_mul_f64 v[6:7], v[39:40], v[4:5]
	ds_read_b64 v[8:9], v255 offset:968
	v_mul_f64 v[6:7], v[89:90], v[6:7]
	s_waitcnt lgkmcnt(0)
	v_fma_f64 v[2:3], v[6:7], v[8:9], v[2:3]
	v_mul_f64 v[6:7], v[25:26], v[4:5]
	ds_read_b64 v[8:9], v255 offset:976
	v_mul_f64 v[6:7], v[85:86], v[6:7]
	s_waitcnt lgkmcnt(0)
	v_fma_f64 v[2:3], v[6:7], v[8:9], v[2:3]
	v_mul_f64 v[6:7], v[19:20], v[4:5]
	v_mul_f64 v[4:5], v[15:16], v[4:5]
	ds_read_b64 v[8:9], v255 offset:984
	v_mul_f64 v[6:7], v[81:82], v[6:7]
	v_mul_f64 v[4:5], v[77:78], v[4:5]
	s_waitcnt lgkmcnt(0)
	v_fma_f64 v[2:3], v[6:7], v[8:9], v[2:3]
	ds_read_b64 v[6:7], v255 offset:992
	s_waitcnt lgkmcnt(0)
	v_fma_f64 v[2:3], v[4:5], v[6:7], v[2:3]
	global_store_dwordx2 v[0:1], v[2:3], off offset:2048
	ds_read_b64 v[39:40], v131
	ds_read_b64 v[25:26], v131 offset:32
	ds_read_b64 v[19:20], v131 offset:64
	;; [unrolled: 1-line block ×5, first 2 shown]
	ds_read_b64 v[4:5], v132
	ds_read_b64 v[6:7], v132 offset:32
	ds_read_b64 v[8:9], v255 offset:1064
	;; [unrolled: 1-line block ×8, first 2 shown]
	ds_read_b64 v[53:54], v36
	ds_read_b64 v[57:58], v36 offset:32
	ds_read_b64 v[61:62], v136
	ds_read_b64 v[65:66], v136 offset:32
	;; [unrolled: 2-line block ×3, first 2 shown]
	ds_read_b64 v[73:74], v255 offset:16
	ds_read_b64 v[75:76], v255 offset:24
	;; [unrolled: 1-line block ×6, first 2 shown]
	s_waitcnt lgkmcnt(9)
	v_mul_f64 v[53:54], v[53:54], v[61:62]
	s_waitcnt lgkmcnt(8)
	v_mul_f64 v[57:58], v[57:58], v[65:66]
	v_mul_f64 v[61:62], v[4:5], v[53:54]
	;; [unrolled: 1-line block ×5, first 2 shown]
	s_waitcnt lgkmcnt(7)
	v_fma_f64 v[67:68], v[69:70], v[67:68], 0
	v_mul_f64 v[69:70], v[25:26], v[61:62]
	v_mul_f64 v[69:70], v[227:228], v[69:70]
	s_waitcnt lgkmcnt(6)
	v_fma_f64 v[67:68], v[71:72], v[69:70], v[67:68]
	v_mul_f64 v[69:70], v[19:20], v[61:62]
	ds_read_b64 v[71:72], v255 offset:64
	v_mul_f64 v[69:70], v[237:238], v[69:70]
	s_waitcnt lgkmcnt(6)
	v_fma_f64 v[67:68], v[73:74], v[69:70], v[67:68]
	v_mul_f64 v[69:70], v[15:16], v[61:62]
	v_mul_f64 v[61:62], v[0:1], v[61:62]
	;; [unrolled: 1-line block ×4, first 2 shown]
	s_waitcnt lgkmcnt(5)
	v_fma_f64 v[67:68], v[75:76], v[69:70], v[67:68]
	s_waitcnt lgkmcnt(4)
	v_fma_f64 v[61:62], v[61:62], v[77:78], v[67:68]
	v_mul_f64 v[67:68], v[6:7], v[53:54]
	v_mul_f64 v[67:68], v[8:9], v[67:68]
	;; [unrolled: 1-line block ×4, first 2 shown]
	s_waitcnt lgkmcnt(3)
	v_fma_f64 v[61:62], v[69:70], v[79:80], v[61:62]
	v_mul_f64 v[69:70], v[25:26], v[67:68]
	v_mul_f64 v[69:70], v[227:228], v[69:70]
	s_waitcnt lgkmcnt(2)
	v_fma_f64 v[61:62], v[69:70], v[81:82], v[61:62]
	v_mul_f64 v[69:70], v[19:20], v[67:68]
	v_mul_f64 v[69:70], v[237:238], v[69:70]
	;; [unrolled: 4-line block ×3, first 2 shown]
	v_mul_f64 v[69:70], v[233:234], v[69:70]
	v_mul_f64 v[67:68], v[125:126], v[67:68]
	s_waitcnt lgkmcnt(0)
	v_fma_f64 v[61:62], v[69:70], v[71:72], v[61:62]
	ds_read_b64 v[69:70], v255 offset:72
	ds_read_b64 v[71:72], v255 offset:80
	s_waitcnt lgkmcnt(1)
	v_fma_f64 v[61:62], v[67:68], v[69:70], v[61:62]
	v_mul_f64 v[67:68], v[31:32], v[53:54]
	v_mul_f64 v[67:68], v[33:34], v[67:68]
	;; [unrolled: 1-line block ×4, first 2 shown]
	s_waitcnt lgkmcnt(0)
	v_fma_f64 v[61:62], v[69:70], v[71:72], v[61:62]
	v_mul_f64 v[69:70], v[25:26], v[67:68]
	ds_read_b64 v[71:72], v255 offset:88
	v_mul_f64 v[69:70], v[227:228], v[69:70]
	s_waitcnt lgkmcnt(0)
	v_fma_f64 v[61:62], v[69:70], v[71:72], v[61:62]
	v_mul_f64 v[69:70], v[19:20], v[67:68]
	ds_read_b64 v[71:72], v255 offset:96
	v_mul_f64 v[69:70], v[237:238], v[69:70]
	s_waitcnt lgkmcnt(0)
	v_fma_f64 v[61:62], v[69:70], v[71:72], v[61:62]
	v_mul_f64 v[69:70], v[15:16], v[67:68]
	v_mul_f64 v[67:68], v[0:1], v[67:68]
	ds_read_b64 v[71:72], v255 offset:104
	v_mul_f64 v[69:70], v[233:234], v[69:70]
	v_mul_f64 v[67:68], v[125:126], v[67:68]
	s_waitcnt lgkmcnt(0)
	v_fma_f64 v[61:62], v[69:70], v[71:72], v[61:62]
	ds_read_b64 v[69:70], v255 offset:112
	ds_read_b64 v[71:72], v255 offset:120
	s_waitcnt lgkmcnt(1)
	v_fma_f64 v[61:62], v[67:68], v[69:70], v[61:62]
	v_mul_f64 v[67:68], v[27:28], v[53:54]
	v_mul_f64 v[53:54], v[43:44], v[53:54]
	;; [unrolled: 1-line block ×6, first 2 shown]
	s_waitcnt lgkmcnt(0)
	v_fma_f64 v[61:62], v[69:70], v[71:72], v[61:62]
	v_mul_f64 v[69:70], v[25:26], v[67:68]
	ds_read_b64 v[71:72], v255 offset:128
	v_mul_f64 v[69:70], v[227:228], v[69:70]
	s_waitcnt lgkmcnt(0)
	v_fma_f64 v[61:62], v[69:70], v[71:72], v[61:62]
	v_mul_f64 v[69:70], v[19:20], v[67:68]
	ds_read_b64 v[71:72], v255 offset:136
	v_mul_f64 v[69:70], v[237:238], v[69:70]
	s_waitcnt lgkmcnt(0)
	v_fma_f64 v[61:62], v[69:70], v[71:72], v[61:62]
	v_mul_f64 v[69:70], v[15:16], v[67:68]
	v_mul_f64 v[67:68], v[0:1], v[67:68]
	ds_read_b64 v[71:72], v255 offset:144
	v_mul_f64 v[69:70], v[233:234], v[69:70]
	v_mul_f64 v[67:68], v[125:126], v[67:68]
	s_waitcnt lgkmcnt(0)
	v_fma_f64 v[61:62], v[69:70], v[71:72], v[61:62]
	ds_read_b64 v[69:70], v255 offset:152
	s_waitcnt lgkmcnt(0)
	v_fma_f64 v[61:62], v[67:68], v[69:70], v[61:62]
	v_mul_f64 v[67:68], v[39:40], v[53:54]
	ds_read_b64 v[69:70], v255 offset:160
	v_mul_f64 v[67:68], v[241:242], v[67:68]
	s_waitcnt lgkmcnt(0)
	v_fma_f64 v[61:62], v[67:68], v[69:70], v[61:62]
	v_mul_f64 v[67:68], v[25:26], v[53:54]
	ds_read_b64 v[69:70], v255 offset:168
	v_mul_f64 v[67:68], v[227:228], v[67:68]
	;; [unrolled: 5-line block ×3, first 2 shown]
	s_waitcnt lgkmcnt(0)
	v_fma_f64 v[61:62], v[67:68], v[69:70], v[61:62]
	v_mul_f64 v[67:68], v[15:16], v[53:54]
	v_mul_f64 v[53:54], v[0:1], v[53:54]
	ds_read_b64 v[69:70], v255 offset:184
	v_mul_f64 v[67:68], v[233:234], v[67:68]
	v_mul_f64 v[53:54], v[125:126], v[53:54]
	s_waitcnt lgkmcnt(0)
	v_fma_f64 v[61:62], v[67:68], v[69:70], v[61:62]
	ds_read_b64 v[67:68], v255 offset:192
	s_waitcnt lgkmcnt(0)
	v_fma_f64 v[53:54], v[53:54], v[67:68], v[61:62]
	v_mul_f64 v[61:62], v[4:5], v[57:58]
	ds_read_b64 v[67:68], v255 offset:200
	v_mul_f64 v[61:62], v[2:3], v[61:62]
	v_mul_f64 v[65:66], v[39:40], v[61:62]
	v_mul_f64 v[65:66], v[241:242], v[65:66]
	s_waitcnt lgkmcnt(0)
	v_fma_f64 v[53:54], v[67:68], v[65:66], v[53:54]
	v_mul_f64 v[65:66], v[25:26], v[61:62]
	ds_read_b64 v[67:68], v255 offset:208
	v_mul_f64 v[65:66], v[227:228], v[65:66]
	s_waitcnt lgkmcnt(0)
	v_fma_f64 v[53:54], v[67:68], v[65:66], v[53:54]
	v_mul_f64 v[65:66], v[19:20], v[61:62]
	ds_read_b64 v[67:68], v255 offset:216
	v_mul_f64 v[65:66], v[237:238], v[65:66]
	s_waitcnt lgkmcnt(0)
	v_fma_f64 v[53:54], v[67:68], v[65:66], v[53:54]
	v_mul_f64 v[65:66], v[15:16], v[61:62]
	v_mul_f64 v[61:62], v[0:1], v[61:62]
	ds_read_b64 v[67:68], v255 offset:224
	v_mul_f64 v[65:66], v[233:234], v[65:66]
	v_mul_f64 v[61:62], v[125:126], v[61:62]
	s_waitcnt lgkmcnt(0)
	v_fma_f64 v[53:54], v[67:68], v[65:66], v[53:54]
	ds_read_b64 v[65:66], v255 offset:232
	ds_read_b64 v[67:68], v255 offset:240
	s_waitcnt lgkmcnt(1)
	v_fma_f64 v[53:54], v[61:62], v[65:66], v[53:54]
	v_mul_f64 v[61:62], v[6:7], v[57:58]
	v_mul_f64 v[61:62], v[8:9], v[61:62]
	v_mul_f64 v[65:66], v[39:40], v[61:62]
	v_mul_f64 v[65:66], v[241:242], v[65:66]
	s_waitcnt lgkmcnt(0)
	v_fma_f64 v[53:54], v[65:66], v[67:68], v[53:54]
	v_mul_f64 v[65:66], v[25:26], v[61:62]
	ds_read_b64 v[67:68], v255 offset:248
	v_mul_f64 v[65:66], v[227:228], v[65:66]
	s_waitcnt lgkmcnt(0)
	v_fma_f64 v[53:54], v[65:66], v[67:68], v[53:54]
	v_mul_f64 v[65:66], v[19:20], v[61:62]
	ds_read_b64 v[67:68], v255 offset:256
	v_mul_f64 v[65:66], v[237:238], v[65:66]
	s_waitcnt lgkmcnt(0)
	v_fma_f64 v[53:54], v[65:66], v[67:68], v[53:54]
	v_mul_f64 v[65:66], v[15:16], v[61:62]
	v_mul_f64 v[61:62], v[0:1], v[61:62]
	ds_read_b64 v[67:68], v255 offset:264
	v_mul_f64 v[65:66], v[233:234], v[65:66]
	v_mul_f64 v[61:62], v[125:126], v[61:62]
	s_waitcnt lgkmcnt(0)
	v_fma_f64 v[53:54], v[65:66], v[67:68], v[53:54]
	ds_read_b64 v[65:66], v255 offset:272
	ds_read_b64 v[67:68], v255 offset:280
	s_waitcnt lgkmcnt(1)
	v_fma_f64 v[53:54], v[61:62], v[65:66], v[53:54]
	v_mul_f64 v[61:62], v[31:32], v[57:58]
	;; [unrolled: 27-line block ×3, first 2 shown]
	v_mul_f64 v[57:58], v[43:44], v[57:58]
	v_mul_f64 v[61:62], v[29:30], v[61:62]
	;; [unrolled: 1-line block ×5, first 2 shown]
	s_waitcnt lgkmcnt(0)
	v_fma_f64 v[53:54], v[65:66], v[67:68], v[53:54]
	v_mul_f64 v[65:66], v[25:26], v[61:62]
	ds_read_b64 v[67:68], v255 offset:328
	v_mul_f64 v[65:66], v[227:228], v[65:66]
	s_waitcnt lgkmcnt(0)
	v_fma_f64 v[53:54], v[65:66], v[67:68], v[53:54]
	v_mul_f64 v[65:66], v[19:20], v[61:62]
	ds_read_b64 v[67:68], v255 offset:336
	v_mul_f64 v[65:66], v[237:238], v[65:66]
	s_waitcnt lgkmcnt(0)
	v_fma_f64 v[53:54], v[65:66], v[67:68], v[53:54]
	v_mul_f64 v[65:66], v[15:16], v[61:62]
	v_mul_f64 v[61:62], v[0:1], v[61:62]
	ds_read_b64 v[67:68], v255 offset:344
	v_mul_f64 v[65:66], v[233:234], v[65:66]
	v_mul_f64 v[61:62], v[125:126], v[61:62]
	s_waitcnt lgkmcnt(0)
	v_fma_f64 v[53:54], v[65:66], v[67:68], v[53:54]
	ds_read_b64 v[65:66], v255 offset:352
	s_waitcnt lgkmcnt(0)
	v_fma_f64 v[53:54], v[61:62], v[65:66], v[53:54]
	v_mul_f64 v[61:62], v[39:40], v[57:58]
	ds_read_b64 v[65:66], v255 offset:360
	v_mul_f64 v[61:62], v[241:242], v[61:62]
	s_waitcnt lgkmcnt(0)
	v_fma_f64 v[53:54], v[61:62], v[65:66], v[53:54]
	v_mul_f64 v[61:62], v[25:26], v[57:58]
	ds_read_b64 v[65:66], v255 offset:368
	v_mul_f64 v[61:62], v[227:228], v[61:62]
	;; [unrolled: 5-line block ×3, first 2 shown]
	s_waitcnt lgkmcnt(0)
	v_fma_f64 v[53:54], v[61:62], v[65:66], v[53:54]
	v_mul_f64 v[61:62], v[15:16], v[57:58]
	v_mul_f64 v[57:58], v[0:1], v[57:58]
	ds_read_b64 v[65:66], v255 offset:384
	v_mul_f64 v[61:62], v[233:234], v[61:62]
	v_mul_f64 v[57:58], v[125:126], v[57:58]
	s_waitcnt lgkmcnt(0)
	v_fma_f64 v[53:54], v[61:62], v[65:66], v[53:54]
	ds_read_b64 v[61:62], v255 offset:392
	s_waitcnt lgkmcnt(0)
	v_fma_f64 v[53:54], v[57:58], v[61:62], v[53:54]
	ds_read_b64 v[57:58], v36 offset:64
	ds_read_b64 v[61:62], v136 offset:64
	;; [unrolled: 1-line block ×3, first 2 shown]
	s_waitcnt lgkmcnt(1)
	v_mul_f64 v[57:58], v[57:58], v[61:62]
	v_mul_f64 v[61:62], v[4:5], v[57:58]
	;; [unrolled: 1-line block ×5, first 2 shown]
	s_waitcnt lgkmcnt(0)
	v_fma_f64 v[53:54], v[67:68], v[65:66], v[53:54]
	v_mul_f64 v[65:66], v[25:26], v[61:62]
	ds_read_b64 v[67:68], v255 offset:408
	v_mul_f64 v[65:66], v[227:228], v[65:66]
	s_waitcnt lgkmcnt(0)
	v_fma_f64 v[53:54], v[67:68], v[65:66], v[53:54]
	v_mul_f64 v[65:66], v[19:20], v[61:62]
	ds_read_b64 v[67:68], v255 offset:416
	v_mul_f64 v[65:66], v[237:238], v[65:66]
	s_waitcnt lgkmcnt(0)
	v_fma_f64 v[53:54], v[67:68], v[65:66], v[53:54]
	v_mul_f64 v[65:66], v[15:16], v[61:62]
	v_mul_f64 v[61:62], v[0:1], v[61:62]
	ds_read_b64 v[67:68], v255 offset:424
	v_mul_f64 v[65:66], v[233:234], v[65:66]
	v_mul_f64 v[61:62], v[125:126], v[61:62]
	s_waitcnt lgkmcnt(0)
	v_fma_f64 v[53:54], v[67:68], v[65:66], v[53:54]
	ds_read_b64 v[65:66], v255 offset:432
	ds_read_b64 v[67:68], v255 offset:440
	s_waitcnt lgkmcnt(1)
	v_fma_f64 v[53:54], v[61:62], v[65:66], v[53:54]
	v_mul_f64 v[61:62], v[6:7], v[57:58]
	v_mul_f64 v[61:62], v[8:9], v[61:62]
	v_mul_f64 v[65:66], v[39:40], v[61:62]
	v_mul_f64 v[65:66], v[241:242], v[65:66]
	s_waitcnt lgkmcnt(0)
	v_fma_f64 v[53:54], v[65:66], v[67:68], v[53:54]
	v_mul_f64 v[65:66], v[25:26], v[61:62]
	ds_read_b64 v[67:68], v255 offset:448
	v_mul_f64 v[65:66], v[227:228], v[65:66]
	s_waitcnt lgkmcnt(0)
	v_fma_f64 v[53:54], v[65:66], v[67:68], v[53:54]
	v_mul_f64 v[65:66], v[19:20], v[61:62]
	ds_read_b64 v[67:68], v255 offset:456
	v_mul_f64 v[65:66], v[237:238], v[65:66]
	s_waitcnt lgkmcnt(0)
	v_fma_f64 v[53:54], v[65:66], v[67:68], v[53:54]
	v_mul_f64 v[65:66], v[15:16], v[61:62]
	v_mul_f64 v[61:62], v[0:1], v[61:62]
	ds_read_b64 v[67:68], v255 offset:464
	v_mul_f64 v[65:66], v[233:234], v[65:66]
	v_mul_f64 v[61:62], v[125:126], v[61:62]
	s_waitcnt lgkmcnt(0)
	v_fma_f64 v[53:54], v[65:66], v[67:68], v[53:54]
	ds_read_b64 v[65:66], v255 offset:472
	ds_read_b64 v[67:68], v255 offset:480
	s_waitcnt lgkmcnt(1)
	v_fma_f64 v[53:54], v[61:62], v[65:66], v[53:54]
	v_mul_f64 v[61:62], v[31:32], v[57:58]
	v_mul_f64 v[61:62], v[33:34], v[61:62]
	v_mul_f64 v[65:66], v[39:40], v[61:62]
	v_mul_f64 v[65:66], v[241:242], v[65:66]
	;; [unrolled: 27-line block ×3, first 2 shown]
	v_mul_f64 v[65:66], v[39:40], v[61:62]
	v_mul_f64 v[65:66], v[241:242], v[65:66]
	s_waitcnt lgkmcnt(0)
	v_fma_f64 v[53:54], v[65:66], v[67:68], v[53:54]
	v_mul_f64 v[65:66], v[25:26], v[61:62]
	ds_read_b64 v[67:68], v255 offset:528
	v_mul_f64 v[65:66], v[227:228], v[65:66]
	s_waitcnt lgkmcnt(0)
	v_fma_f64 v[53:54], v[65:66], v[67:68], v[53:54]
	v_mul_f64 v[65:66], v[19:20], v[61:62]
	ds_read_b64 v[67:68], v255 offset:536
	v_mul_f64 v[65:66], v[237:238], v[65:66]
	s_waitcnt lgkmcnt(0)
	v_fma_f64 v[53:54], v[65:66], v[67:68], v[53:54]
	v_mul_f64 v[65:66], v[15:16], v[61:62]
	v_mul_f64 v[61:62], v[0:1], v[61:62]
	ds_read_b64 v[67:68], v255 offset:544
	v_mul_f64 v[65:66], v[233:234], v[65:66]
	v_mul_f64 v[61:62], v[125:126], v[61:62]
	s_waitcnt lgkmcnt(0)
	v_fma_f64 v[53:54], v[65:66], v[67:68], v[53:54]
	ds_read_b64 v[65:66], v255 offset:552
	s_waitcnt lgkmcnt(0)
	v_fma_f64 v[53:54], v[61:62], v[65:66], v[53:54]
	v_mul_f64 v[61:62], v[39:40], v[57:58]
	ds_read_b64 v[65:66], v255 offset:560
	v_mul_f64 v[61:62], v[241:242], v[61:62]
	s_waitcnt lgkmcnt(0)
	v_fma_f64 v[53:54], v[61:62], v[65:66], v[53:54]
	v_mul_f64 v[61:62], v[25:26], v[57:58]
	ds_read_b64 v[65:66], v255 offset:568
	v_mul_f64 v[61:62], v[227:228], v[61:62]
	;; [unrolled: 5-line block ×3, first 2 shown]
	s_waitcnt lgkmcnt(0)
	v_fma_f64 v[53:54], v[61:62], v[65:66], v[53:54]
	v_mul_f64 v[61:62], v[15:16], v[57:58]
	v_mul_f64 v[57:58], v[0:1], v[57:58]
	ds_read_b64 v[65:66], v255 offset:584
	v_mul_f64 v[61:62], v[233:234], v[61:62]
	v_mul_f64 v[57:58], v[125:126], v[57:58]
	s_waitcnt lgkmcnt(0)
	v_fma_f64 v[53:54], v[61:62], v[65:66], v[53:54]
	ds_read_b64 v[61:62], v255 offset:592
	s_waitcnt lgkmcnt(0)
	v_fma_f64 v[53:54], v[57:58], v[61:62], v[53:54]
	ds_read_b64 v[57:58], v36 offset:96
	ds_read_b64 v[61:62], v136 offset:96
	;; [unrolled: 1-line block ×3, first 2 shown]
	s_waitcnt lgkmcnt(1)
	v_mul_f64 v[57:58], v[57:58], v[61:62]
	v_mul_f64 v[61:62], v[4:5], v[57:58]
	;; [unrolled: 1-line block ×5, first 2 shown]
	s_waitcnt lgkmcnt(0)
	v_fma_f64 v[53:54], v[67:68], v[65:66], v[53:54]
	v_mul_f64 v[65:66], v[25:26], v[61:62]
	ds_read_b64 v[67:68], v255 offset:608
	v_mul_f64 v[65:66], v[227:228], v[65:66]
	s_waitcnt lgkmcnt(0)
	v_fma_f64 v[53:54], v[67:68], v[65:66], v[53:54]
	v_mul_f64 v[65:66], v[19:20], v[61:62]
	ds_read_b64 v[67:68], v255 offset:616
	v_mul_f64 v[65:66], v[237:238], v[65:66]
	s_waitcnt lgkmcnt(0)
	v_fma_f64 v[53:54], v[67:68], v[65:66], v[53:54]
	v_mul_f64 v[65:66], v[15:16], v[61:62]
	v_mul_f64 v[61:62], v[0:1], v[61:62]
	ds_read_b64 v[67:68], v255 offset:624
	v_mul_f64 v[65:66], v[233:234], v[65:66]
	v_mul_f64 v[61:62], v[125:126], v[61:62]
	s_waitcnt lgkmcnt(0)
	v_fma_f64 v[53:54], v[67:68], v[65:66], v[53:54]
	ds_read_b64 v[65:66], v255 offset:632
	ds_read_b64 v[67:68], v255 offset:640
	s_waitcnt lgkmcnt(1)
	v_fma_f64 v[53:54], v[61:62], v[65:66], v[53:54]
	v_mul_f64 v[61:62], v[6:7], v[57:58]
	v_mul_f64 v[61:62], v[8:9], v[61:62]
	v_mul_f64 v[65:66], v[39:40], v[61:62]
	v_mul_f64 v[65:66], v[241:242], v[65:66]
	s_waitcnt lgkmcnt(0)
	v_fma_f64 v[53:54], v[65:66], v[67:68], v[53:54]
	v_mul_f64 v[65:66], v[25:26], v[61:62]
	ds_read_b64 v[67:68], v255 offset:648
	v_mul_f64 v[65:66], v[227:228], v[65:66]
	s_waitcnt lgkmcnt(0)
	v_fma_f64 v[53:54], v[65:66], v[67:68], v[53:54]
	v_mul_f64 v[65:66], v[19:20], v[61:62]
	ds_read_b64 v[67:68], v255 offset:656
	v_mul_f64 v[65:66], v[237:238], v[65:66]
	s_waitcnt lgkmcnt(0)
	v_fma_f64 v[53:54], v[65:66], v[67:68], v[53:54]
	v_mul_f64 v[65:66], v[15:16], v[61:62]
	v_mul_f64 v[61:62], v[0:1], v[61:62]
	ds_read_b64 v[67:68], v255 offset:664
	v_mul_f64 v[65:66], v[233:234], v[65:66]
	v_mul_f64 v[61:62], v[125:126], v[61:62]
	s_waitcnt lgkmcnt(0)
	v_fma_f64 v[53:54], v[65:66], v[67:68], v[53:54]
	ds_read_b64 v[65:66], v255 offset:672
	ds_read_b64 v[67:68], v255 offset:680
	s_waitcnt lgkmcnt(1)
	v_fma_f64 v[53:54], v[61:62], v[65:66], v[53:54]
	v_mul_f64 v[61:62], v[31:32], v[57:58]
	v_mul_f64 v[61:62], v[33:34], v[61:62]
	v_mul_f64 v[65:66], v[39:40], v[61:62]
	v_mul_f64 v[65:66], v[241:242], v[65:66]
	s_waitcnt lgkmcnt(0)
	v_fma_f64 v[53:54], v[65:66], v[67:68], v[53:54]
	v_mul_f64 v[65:66], v[25:26], v[61:62]
	ds_read_b64 v[67:68], v255 offset:688
	v_mul_f64 v[65:66], v[227:228], v[65:66]
	s_waitcnt lgkmcnt(0)
	v_fma_f64 v[53:54], v[65:66], v[67:68], v[53:54]
	v_mul_f64 v[65:66], v[19:20], v[61:62]
	ds_read_b64 v[67:68], v255 offset:696
	v_mul_f64 v[65:66], v[237:238], v[65:66]
	s_waitcnt lgkmcnt(0)
	v_fma_f64 v[53:54], v[65:66], v[67:68], v[53:54]
	v_mul_f64 v[65:66], v[15:16], v[61:62]
	v_mul_f64 v[61:62], v[0:1], v[61:62]
	ds_read_b64 v[67:68], v255 offset:704
	v_mul_f64 v[65:66], v[233:234], v[65:66]
	v_mul_f64 v[61:62], v[125:126], v[61:62]
	s_waitcnt lgkmcnt(0)
	v_fma_f64 v[53:54], v[65:66], v[67:68], v[53:54]
	ds_read_b64 v[65:66], v255 offset:712
	ds_read_b64 v[67:68], v255 offset:720
	s_waitcnt lgkmcnt(1)
	v_fma_f64 v[53:54], v[61:62], v[65:66], v[53:54]
	v_mul_f64 v[61:62], v[27:28], v[57:58]
	v_mul_f64 v[57:58], v[43:44], v[57:58]
	v_mul_f64 v[61:62], v[29:30], v[61:62]
	v_mul_f64 v[57:58], v[47:48], v[57:58]
	v_mul_f64 v[65:66], v[39:40], v[61:62]
	v_mul_f64 v[65:66], v[241:242], v[65:66]
	s_waitcnt lgkmcnt(0)
	v_fma_f64 v[53:54], v[65:66], v[67:68], v[53:54]
	v_mul_f64 v[65:66], v[25:26], v[61:62]
	ds_read_b64 v[67:68], v255 offset:728
	v_mul_f64 v[65:66], v[227:228], v[65:66]
	s_waitcnt lgkmcnt(0)
	v_fma_f64 v[53:54], v[65:66], v[67:68], v[53:54]
	v_mul_f64 v[65:66], v[19:20], v[61:62]
	ds_read_b64 v[67:68], v255 offset:736
	v_mul_f64 v[65:66], v[237:238], v[65:66]
	s_waitcnt lgkmcnt(0)
	v_fma_f64 v[53:54], v[65:66], v[67:68], v[53:54]
	v_mul_f64 v[65:66], v[15:16], v[61:62]
	v_mul_f64 v[61:62], v[0:1], v[61:62]
	ds_read_b64 v[67:68], v255 offset:744
	v_mul_f64 v[65:66], v[233:234], v[65:66]
	v_mul_f64 v[61:62], v[125:126], v[61:62]
	s_waitcnt lgkmcnt(0)
	v_fma_f64 v[53:54], v[65:66], v[67:68], v[53:54]
	ds_read_b64 v[65:66], v255 offset:752
	s_waitcnt lgkmcnt(0)
	v_fma_f64 v[53:54], v[61:62], v[65:66], v[53:54]
	v_mul_f64 v[61:62], v[39:40], v[57:58]
	ds_read_b64 v[65:66], v255 offset:760
	v_mul_f64 v[61:62], v[241:242], v[61:62]
	s_waitcnt lgkmcnt(0)
	v_fma_f64 v[53:54], v[61:62], v[65:66], v[53:54]
	v_mul_f64 v[61:62], v[25:26], v[57:58]
	ds_read_b64 v[65:66], v255 offset:768
	v_mul_f64 v[61:62], v[227:228], v[61:62]
	;; [unrolled: 5-line block ×3, first 2 shown]
	s_waitcnt lgkmcnt(0)
	v_fma_f64 v[53:54], v[61:62], v[65:66], v[53:54]
	v_mul_f64 v[61:62], v[15:16], v[57:58]
	v_mul_f64 v[57:58], v[0:1], v[57:58]
	ds_read_b64 v[65:66], v255 offset:784
	v_mul_f64 v[61:62], v[233:234], v[61:62]
	v_mul_f64 v[57:58], v[125:126], v[57:58]
	s_waitcnt lgkmcnt(0)
	v_fma_f64 v[53:54], v[61:62], v[65:66], v[53:54]
	ds_read_b64 v[61:62], v255 offset:792
	s_waitcnt lgkmcnt(0)
	v_fma_f64 v[53:54], v[57:58], v[61:62], v[53:54]
	ds_read_b64 v[57:58], v36 offset:128
	ds_read_b64 v[61:62], v136 offset:128
	s_waitcnt lgkmcnt(0)
	v_mul_f64 v[57:58], v[57:58], v[61:62]
	ds_read_b64 v[61:62], v255 offset:800
	v_mul_f64 v[4:5], v[4:5], v[57:58]
	v_mul_f64 v[2:3], v[2:3], v[4:5]
	v_mul_f64 v[4:5], v[39:40], v[2:3]
	v_mul_f64 v[4:5], v[241:242], v[4:5]
	s_waitcnt lgkmcnt(0)
	v_fma_f64 v[4:5], v[61:62], v[4:5], v[53:54]
	v_mul_f64 v[53:54], v[25:26], v[2:3]
	ds_read_b64 v[61:62], v255 offset:808
	v_mul_f64 v[53:54], v[227:228], v[53:54]
	s_waitcnt lgkmcnt(0)
	v_fma_f64 v[4:5], v[61:62], v[53:54], v[4:5]
	v_mul_f64 v[53:54], v[19:20], v[2:3]
	ds_read_b64 v[61:62], v255 offset:816
	v_mul_f64 v[53:54], v[237:238], v[53:54]
	s_waitcnt lgkmcnt(0)
	v_fma_f64 v[4:5], v[61:62], v[53:54], v[4:5]
	v_mul_f64 v[53:54], v[15:16], v[2:3]
	v_mul_f64 v[2:3], v[0:1], v[2:3]
	ds_read_b64 v[61:62], v255 offset:824
	v_mul_f64 v[53:54], v[233:234], v[53:54]
	v_mul_f64 v[2:3], v[125:126], v[2:3]
	s_waitcnt lgkmcnt(0)
	v_fma_f64 v[4:5], v[61:62], v[53:54], v[4:5]
	ds_read_b64 v[53:54], v255 offset:832
	s_waitcnt lgkmcnt(0)
	v_fma_f64 v[2:3], v[2:3], v[53:54], v[4:5]
	v_mul_f64 v[4:5], v[6:7], v[57:58]
	v_mul_f64 v[4:5], v[8:9], v[4:5]
	ds_read_b64 v[8:9], v255 offset:840
	v_mul_f64 v[6:7], v[39:40], v[4:5]
	v_mul_f64 v[6:7], v[241:242], v[6:7]
	s_waitcnt lgkmcnt(0)
	v_fma_f64 v[2:3], v[6:7], v[8:9], v[2:3]
	v_mul_f64 v[6:7], v[25:26], v[4:5]
	ds_read_b64 v[8:9], v255 offset:848
	v_mul_f64 v[6:7], v[227:228], v[6:7]
	s_waitcnt lgkmcnt(0)
	v_fma_f64 v[2:3], v[6:7], v[8:9], v[2:3]
	v_mul_f64 v[6:7], v[19:20], v[4:5]
	ds_read_b64 v[8:9], v255 offset:856
	v_mul_f64 v[6:7], v[237:238], v[6:7]
	s_waitcnt lgkmcnt(0)
	v_fma_f64 v[2:3], v[6:7], v[8:9], v[2:3]
	v_mul_f64 v[6:7], v[15:16], v[4:5]
	v_mul_f64 v[4:5], v[0:1], v[4:5]
	ds_read_b64 v[8:9], v255 offset:864
	v_mul_f64 v[6:7], v[233:234], v[6:7]
	v_mul_f64 v[4:5], v[125:126], v[4:5]
	s_waitcnt lgkmcnt(0)
	v_fma_f64 v[2:3], v[6:7], v[8:9], v[2:3]
	ds_read_b64 v[6:7], v255 offset:872
	ds_read_b64 v[8:9], v255 offset:880
	s_waitcnt lgkmcnt(1)
	v_fma_f64 v[2:3], v[4:5], v[6:7], v[2:3]
	v_mul_f64 v[4:5], v[31:32], v[57:58]
	v_mul_f64 v[4:5], v[33:34], v[4:5]
	v_mul_f64 v[6:7], v[39:40], v[4:5]
	v_mul_f64 v[6:7], v[241:242], v[6:7]
	s_waitcnt lgkmcnt(0)
	v_fma_f64 v[2:3], v[6:7], v[8:9], v[2:3]
	v_mul_f64 v[6:7], v[25:26], v[4:5]
	ds_read_b64 v[8:9], v255 offset:888
	v_mul_f64 v[6:7], v[227:228], v[6:7]
	s_waitcnt lgkmcnt(0)
	v_fma_f64 v[2:3], v[6:7], v[8:9], v[2:3]
	v_mul_f64 v[6:7], v[19:20], v[4:5]
	ds_read_b64 v[8:9], v255 offset:896
	v_mul_f64 v[6:7], v[237:238], v[6:7]
	s_waitcnt lgkmcnt(0)
	v_fma_f64 v[2:3], v[6:7], v[8:9], v[2:3]
	v_mul_f64 v[6:7], v[15:16], v[4:5]
	v_mul_f64 v[4:5], v[0:1], v[4:5]
	ds_read_b64 v[8:9], v255 offset:904
	v_mul_f64 v[6:7], v[233:234], v[6:7]
	v_mul_f64 v[4:5], v[125:126], v[4:5]
	s_waitcnt lgkmcnt(0)
	v_fma_f64 v[2:3], v[6:7], v[8:9], v[2:3]
	ds_read_b64 v[6:7], v255 offset:912
	ds_read_b64 v[8:9], v255 offset:920
	s_waitcnt lgkmcnt(1)
	v_fma_f64 v[2:3], v[4:5], v[6:7], v[2:3]
	v_mul_f64 v[4:5], v[27:28], v[57:58]
	v_mul_f64 v[4:5], v[29:30], v[4:5]
	;; [unrolled: 27-line block ×3, first 2 shown]
	v_mul_f64 v[6:7], v[39:40], v[4:5]
	v_mul_f64 v[0:1], v[0:1], v[4:5]
	;; [unrolled: 1-line block ×4, first 2 shown]
	s_waitcnt lgkmcnt(0)
	v_fma_f64 v[2:3], v[6:7], v[8:9], v[2:3]
	v_mul_f64 v[6:7], v[25:26], v[4:5]
	ds_read_b64 v[8:9], v255 offset:968
	v_mul_f64 v[6:7], v[227:228], v[6:7]
	s_waitcnt lgkmcnt(0)
	v_fma_f64 v[2:3], v[6:7], v[8:9], v[2:3]
	v_mul_f64 v[6:7], v[19:20], v[4:5]
	ds_read_b64 v[8:9], v255 offset:976
	v_mul_f64 v[6:7], v[237:238], v[6:7]
	s_waitcnt lgkmcnt(0)
	v_fma_f64 v[2:3], v[6:7], v[8:9], v[2:3]
	v_mul_f64 v[6:7], v[15:16], v[4:5]
	ds_read_b64 v[8:9], v255 offset:984
	ds_read_b64 v[4:5], v255 offset:992
	v_mul_f64 v[6:7], v[233:234], v[6:7]
	s_waitcnt lgkmcnt(1)
	v_fma_f64 v[2:3], v[6:7], v[8:9], v[2:3]
	s_waitcnt lgkmcnt(0)
	v_fma_f64 v[0:1], v[0:1], v[4:5], v[2:3]
	global_store_dwordx2 v[111:112], v[0:1], off offset:2048
	ds_read_b64 v[0:1], v131
	ds_read_b64 v[2:3], v131 offset:32
	ds_read_b64 v[4:5], v131 offset:64
	;; [unrolled: 1-line block ×4, first 2 shown]
	ds_read_b64 v[15:16], v132
	ds_read_b64 v[19:20], v132 offset:32
	ds_read_b64 v[25:26], v132 offset:64
	;; [unrolled: 1-line block ×5, first 2 shown]
	ds_read_b64 v[33:34], v36
	ds_read_b64 v[39:40], v36 offset:32
	ds_read_b64 v[43:44], v136
	ds_read_b64 v[47:48], v136 offset:32
	s_waitcnt lgkmcnt(1)
	v_mul_f64 v[33:34], v[33:34], v[43:44]
	s_waitcnt lgkmcnt(0)
	v_mul_f64 v[39:40], v[39:40], v[47:48]
	v_mul_f64 v[43:44], v[15:16], v[33:34]
	;; [unrolled: 1-line block ×7, first 2 shown]
	v_fma_f64 v[53:54], v[159:160], v[53:54], 0
	v_fma_f64 v[53:54], v[151:152], v[57:58], v[53:54]
	v_mul_f64 v[57:58], v[4:5], v[43:44]
	v_mul_f64 v[57:58], v[247:248], v[57:58]
	v_fma_f64 v[53:54], v[147:148], v[57:58], v[53:54]
	v_mul_f64 v[57:58], v[6:7], v[43:44]
	v_mul_f64 v[43:44], v[8:9], v[43:44]
	;; [unrolled: 1-line block ×4, first 2 shown]
	v_fma_f64 v[53:54], v[193:194], v[57:58], v[53:54]
	v_fma_f64 v[43:44], v[43:44], v[189:190], v[53:54]
	v_mul_f64 v[53:54], v[19:20], v[33:34]
	v_mul_f64 v[53:54], v[109:110], v[53:54]
	;; [unrolled: 1-line block ×4, first 2 shown]
	v_fma_f64 v[43:44], v[57:58], v[211:212], v[43:44]
	v_mul_f64 v[57:58], v[2:3], v[53:54]
	v_mul_f64 v[57:58], v[213:214], v[57:58]
	v_fma_f64 v[43:44], v[57:58], v[181:182], v[43:44]
	v_mul_f64 v[57:58], v[4:5], v[53:54]
	v_mul_f64 v[57:58], v[247:248], v[57:58]
	;; [unrolled: 3-line block ×3, first 2 shown]
	v_mul_f64 v[57:58], v[243:244], v[57:58]
	v_mul_f64 v[53:54], v[127:128], v[53:54]
	v_fma_f64 v[43:44], v[57:58], v[143:144], v[43:44]
	v_fma_f64 v[43:44], v[53:54], v[161:162], v[43:44]
	v_mul_f64 v[53:54], v[25:26], v[33:34]
	v_mul_f64 v[53:54], v[201:202], v[53:54]
	;; [unrolled: 1-line block ×4, first 2 shown]
	v_fma_f64 v[43:44], v[57:58], v[153:154], v[43:44]
	v_mul_f64 v[57:58], v[2:3], v[53:54]
	v_mul_f64 v[57:58], v[213:214], v[57:58]
	v_fma_f64 v[43:44], v[57:58], v[149:150], v[43:44]
	v_mul_f64 v[57:58], v[4:5], v[53:54]
	v_mul_f64 v[57:58], v[247:248], v[57:58]
	;; [unrolled: 3-line block ×3, first 2 shown]
	v_mul_f64 v[57:58], v[243:244], v[57:58]
	v_mul_f64 v[53:54], v[127:128], v[53:54]
	v_fma_f64 v[43:44], v[57:58], v[145:146], v[43:44]
	v_fma_f64 v[43:44], v[53:54], v[63:64], v[43:44]
	v_mul_f64 v[53:54], v[27:28], v[33:34]
	v_mul_f64 v[33:34], v[29:30], v[33:34]
	;; [unrolled: 1-line block ×6, first 2 shown]
	v_fma_f64 v[43:44], v[57:58], v[141:142], v[43:44]
	v_mul_f64 v[57:58], v[2:3], v[53:54]
	v_mul_f64 v[57:58], v[213:214], v[57:58]
	v_fma_f64 v[43:44], v[57:58], v[59:60], v[43:44]
	v_mul_f64 v[57:58], v[4:5], v[53:54]
	v_mul_f64 v[57:58], v[247:248], v[57:58]
	;; [unrolled: 3-line block ×3, first 2 shown]
	v_mul_f64 v[57:58], v[243:244], v[57:58]
	v_mul_f64 v[53:54], v[127:128], v[53:54]
	v_fma_f64 v[43:44], v[57:58], v[137:138], v[43:44]
	v_fma_f64 v[43:44], v[53:54], v[123:124], v[43:44]
	v_mul_f64 v[53:54], v[0:1], v[33:34]
	v_mul_f64 v[53:54], v[217:218], v[53:54]
	v_fma_f64 v[43:44], v[53:54], v[49:50], v[43:44]
	v_mul_f64 v[49:50], v[2:3], v[33:34]
	v_mul_f64 v[49:50], v[213:214], v[49:50]
	;; [unrolled: 3-line block ×4, first 2 shown]
	v_mul_f64 v[45:46], v[243:244], v[45:46]
	v_mul_f64 v[33:34], v[127:128], v[33:34]
	v_fma_f64 v[41:42], v[45:46], v[41:42], v[43:44]
	v_fma_f64 v[33:34], v[33:34], v[51:52], v[41:42]
	v_mul_f64 v[41:42], v[15:16], v[39:40]
	v_mul_f64 v[41:42], v[113:114], v[41:42]
	;; [unrolled: 1-line block ×4, first 2 shown]
	v_fma_f64 v[33:34], v[37:38], v[43:44], v[33:34]
	v_mul_f64 v[37:38], v[2:3], v[41:42]
	v_mul_f64 v[37:38], v[213:214], v[37:38]
	v_fma_f64 v[21:22], v[21:22], v[37:38], v[33:34]
	v_mul_f64 v[33:34], v[4:5], v[41:42]
	v_mul_f64 v[33:34], v[247:248], v[33:34]
	;; [unrolled: 3-line block ×5, first 2 shown]
	v_mul_f64 v[21:22], v[0:1], v[17:18]
	v_mul_f64 v[21:22], v[217:218], v[21:22]
	v_fma_f64 v[10:11], v[21:22], v[221:222], v[10:11]
	v_mul_f64 v[21:22], v[2:3], v[17:18]
	v_mul_f64 v[21:22], v[213:214], v[21:22]
	v_fma_f64 v[10:11], v[21:22], v[13:14], v[10:11]
	buffer_load_dword v21, off, s[24:27], 0 offset:2892 ; 4-byte Folded Reload
	buffer_load_dword v22, off, s[24:27], 0 offset:2896 ; 4-byte Folded Reload
	buffer_load_dword v23, off, s[24:27], 0 offset:2900 ; 4-byte Folded Reload
	buffer_load_dword v24, off, s[24:27], 0 offset:2904 ; 4-byte Folded Reload
	v_mul_f64 v[12:13], v[4:5], v[17:18]
	v_mul_f64 v[12:13], v[247:248], v[12:13]
	s_waitcnt vmcnt(2)
	v_fma_f64 v[10:11], v[12:13], v[21:22], v[10:11]
	buffer_load_dword v21, off, s[24:27], s10 ; 4-byte Folded Reload
	buffer_load_dword v22, off, s[24:27], s10 offset:4 ; 4-byte Folded Reload
	buffer_load_dword v23, off, s[24:27], s10 offset:8 ; 4-byte Folded Reload
	buffer_load_dword v24, off, s[24:27], s10 offset:12 ; 4-byte Folded Reload
	v_mul_f64 v[12:13], v[6:7], v[17:18]
	s_mov_b32 s10, 0x43000
	v_mul_f64 v[12:13], v[243:244], v[12:13]
	v_fma_f64 v[10:11], v[12:13], v[155:156], v[10:11]
	v_mul_f64 v[12:13], v[8:9], v[17:18]
	v_mul_f64 v[12:13], v[127:128], v[12:13]
	s_waitcnt vmcnt(2)
	v_fma_f64 v[10:11], v[12:13], v[21:22], v[10:11]
	buffer_load_dword v21, off, s[24:27], 0 offset:2860 ; 4-byte Folded Reload
	buffer_load_dword v22, off, s[24:27], 0 offset:2864 ; 4-byte Folded Reload
	;; [unrolled: 1-line block ×4, first 2 shown]
	v_mul_f64 v[12:13], v[25:26], v[39:40]
	v_mul_f64 v[12:13], v[201:202], v[12:13]
	;; [unrolled: 1-line block ×4, first 2 shown]
	s_waitcnt vmcnt(2)
	v_fma_f64 v[10:11], v[17:18], v[21:22], v[10:11]
	buffer_load_dword v21, off, s[24:27], s10 ; 4-byte Folded Reload
	buffer_load_dword v22, off, s[24:27], s10 offset:4 ; 4-byte Folded Reload
	buffer_load_dword v23, off, s[24:27], s10 offset:8 ; 4-byte Folded Reload
	;; [unrolled: 1-line block ×3, first 2 shown]
	v_mul_f64 v[17:18], v[2:3], v[12:13]
	s_mov_b32 s10, 0x43400
	v_mul_f64 v[17:18], v[213:214], v[17:18]
	s_waitcnt vmcnt(2)
	v_fma_f64 v[10:11], v[17:18], v[21:22], v[10:11]
	buffer_load_dword v21, off, s[24:27], s10 ; 4-byte Folded Reload
	buffer_load_dword v22, off, s[24:27], s10 offset:4 ; 4-byte Folded Reload
	buffer_load_dword v23, off, s[24:27], s10 offset:8 ; 4-byte Folded Reload
	;; [unrolled: 1-line block ×3, first 2 shown]
	v_mul_f64 v[17:18], v[4:5], v[12:13]
	s_mov_b32 s10, 0x42700
	v_mul_f64 v[17:18], v[247:248], v[17:18]
	s_waitcnt vmcnt(2)
	v_fma_f64 v[10:11], v[17:18], v[21:22], v[10:11]
	buffer_load_dword v21, off, s[24:27], 0 offset:2924 ; 4-byte Folded Reload
	buffer_load_dword v22, off, s[24:27], 0 offset:2928 ; 4-byte Folded Reload
	;; [unrolled: 1-line block ×4, first 2 shown]
	v_mul_f64 v[17:18], v[6:7], v[12:13]
	v_mul_f64 v[12:13], v[8:9], v[12:13]
	;; [unrolled: 1-line block ×4, first 2 shown]
	s_waitcnt vmcnt(2)
	v_fma_f64 v[10:11], v[17:18], v[21:22], v[10:11]
	buffer_load_dword v21, off, s[24:27], 0 offset:2988 ; 4-byte Folded Reload
	buffer_load_dword v22, off, s[24:27], 0 offset:2992 ; 4-byte Folded Reload
	;; [unrolled: 1-line block ×4, first 2 shown]
	s_waitcnt vmcnt(2)
	v_fma_f64 v[10:11], v[12:13], v[21:22], v[10:11]
	buffer_load_dword v21, off, s[24:27], s10 ; 4-byte Folded Reload
	buffer_load_dword v22, off, s[24:27], s10 offset:4 ; 4-byte Folded Reload
	buffer_load_dword v23, off, s[24:27], s10 offset:8 ; 4-byte Folded Reload
	;; [unrolled: 1-line block ×3, first 2 shown]
	v_mul_f64 v[12:13], v[27:28], v[39:40]
	s_mov_b32 s10, 0x42300
	v_mul_f64 v[12:13], v[249:250], v[12:13]
	v_mul_f64 v[17:18], v[0:1], v[12:13]
	;; [unrolled: 1-line block ×3, first 2 shown]
	s_waitcnt vmcnt(2)
	v_fma_f64 v[10:11], v[17:18], v[21:22], v[10:11]
	buffer_load_dword v21, off, s[24:27], 0 offset:2940 ; 4-byte Folded Reload
	buffer_load_dword v22, off, s[24:27], 0 offset:2944 ; 4-byte Folded Reload
	buffer_load_dword v23, off, s[24:27], 0 offset:2948 ; 4-byte Folded Reload
	buffer_load_dword v24, off, s[24:27], 0 offset:2952 ; 4-byte Folded Reload
	v_mul_f64 v[17:18], v[2:3], v[12:13]
	v_mul_f64 v[17:18], v[213:214], v[17:18]
	s_waitcnt vmcnt(2)
	v_fma_f64 v[10:11], v[17:18], v[21:22], v[10:11]
	buffer_load_dword v21, off, s[24:27], 0 offset:2956 ; 4-byte Folded Reload
	buffer_load_dword v22, off, s[24:27], 0 offset:2960 ; 4-byte Folded Reload
	buffer_load_dword v23, off, s[24:27], 0 offset:2964 ; 4-byte Folded Reload
	buffer_load_dword v24, off, s[24:27], 0 offset:2968 ; 4-byte Folded Reload
	v_mul_f64 v[17:18], v[4:5], v[12:13]
	v_mul_f64 v[17:18], v[247:248], v[17:18]
	;; [unrolled: 8-line block ×3, first 2 shown]
	v_mul_f64 v[17:18], v[243:244], v[17:18]
	v_mul_f64 v[12:13], v[127:128], v[12:13]
	s_waitcnt vmcnt(2)
	v_fma_f64 v[10:11], v[17:18], v[21:22], v[10:11]
	buffer_load_dword v21, off, s[24:27], s10 ; 4-byte Folded Reload
	buffer_load_dword v22, off, s[24:27], s10 offset:4 ; 4-byte Folded Reload
	buffer_load_dword v23, off, s[24:27], s10 offset:8 ; 4-byte Folded Reload
	;; [unrolled: 1-line block ×3, first 2 shown]
	s_mov_b32 s10, 0x41f00
	s_waitcnt vmcnt(2)
	v_fma_f64 v[10:11], v[12:13], v[21:22], v[10:11]
	buffer_load_dword v21, off, s[24:27], s10 ; 4-byte Folded Reload
	buffer_load_dword v22, off, s[24:27], s10 offset:4 ; 4-byte Folded Reload
	buffer_load_dword v23, off, s[24:27], s10 offset:8 ; 4-byte Folded Reload
	;; [unrolled: 1-line block ×3, first 2 shown]
	v_mul_f64 v[12:13], v[29:30], v[39:40]
	s_mov_b32 s10, 0x41b00
	v_mul_f64 v[12:13], v[31:32], v[12:13]
	v_mul_f64 v[17:18], v[0:1], v[12:13]
	v_mul_f64 v[17:18], v[217:218], v[17:18]
	s_waitcnt vmcnt(2)
	v_fma_f64 v[10:11], v[17:18], v[21:22], v[10:11]
	buffer_load_dword v21, off, s[24:27], 0 offset:3004 ; 4-byte Folded Reload
	buffer_load_dword v22, off, s[24:27], 0 offset:3008 ; 4-byte Folded Reload
	buffer_load_dword v23, off, s[24:27], 0 offset:3012 ; 4-byte Folded Reload
	buffer_load_dword v24, off, s[24:27], 0 offset:3016 ; 4-byte Folded Reload
	v_mul_f64 v[17:18], v[2:3], v[12:13]
	v_mul_f64 v[17:18], v[213:214], v[17:18]
	s_waitcnt vmcnt(2)
	v_fma_f64 v[10:11], v[17:18], v[21:22], v[10:11]
	buffer_load_dword v21, off, s[24:27], 0 offset:3020 ; 4-byte Folded Reload
	buffer_load_dword v22, off, s[24:27], 0 offset:3024 ; 4-byte Folded Reload
	buffer_load_dword v23, off, s[24:27], 0 offset:3028 ; 4-byte Folded Reload
	buffer_load_dword v24, off, s[24:27], 0 offset:3032 ; 4-byte Folded Reload
	v_mul_f64 v[17:18], v[4:5], v[12:13]
	v_mul_f64 v[17:18], v[247:248], v[17:18]
	s_waitcnt vmcnt(2)
	v_fma_f64 v[10:11], v[17:18], v[21:22], v[10:11]
	buffer_load_dword v21, off, s[24:27], 0 offset:3036 ; 4-byte Folded Reload
	buffer_load_dword v22, off, s[24:27], 0 offset:3040 ; 4-byte Folded Reload
	buffer_load_dword v23, off, s[24:27], 0 offset:3044 ; 4-byte Folded Reload
	buffer_load_dword v24, off, s[24:27], 0 offset:3048 ; 4-byte Folded Reload
	v_mul_f64 v[17:18], v[6:7], v[12:13]
	v_mul_f64 v[12:13], v[8:9], v[12:13]
	v_mul_f64 v[17:18], v[243:244], v[17:18]
	v_mul_f64 v[12:13], v[127:128], v[12:13]
	s_waitcnt vmcnt(2)
	v_fma_f64 v[10:11], v[17:18], v[21:22], v[10:11]
	buffer_load_dword v21, off, s[24:27], 0 offset:3116 ; 4-byte Folded Reload
	buffer_load_dword v22, off, s[24:27], 0 offset:3120 ; 4-byte Folded Reload
	;; [unrolled: 1-line block ×4, first 2 shown]
	s_waitcnt vmcnt(2)
	v_fma_f64 v[10:11], v[12:13], v[21:22], v[10:11]
	ds_read_b64 v[12:13], v36 offset:64
	ds_read_b64 v[17:18], v136 offset:64
	buffer_load_dword v37, off, s[24:27], 0 offset:3052 ; 4-byte Folded Reload
	buffer_load_dword v38, off, s[24:27], 0 offset:3056 ; 4-byte Folded Reload
	;; [unrolled: 1-line block ×4, first 2 shown]
	s_waitcnt lgkmcnt(0)
	v_mul_f64 v[12:13], v[12:13], v[17:18]
	v_mul_f64 v[17:18], v[15:16], v[12:13]
	v_mul_f64 v[17:18], v[113:114], v[17:18]
	v_mul_f64 v[21:22], v[0:1], v[17:18]
	v_mul_f64 v[21:22], v[217:218], v[21:22]
	s_waitcnt vmcnt(2)
	v_fma_f64 v[10:11], v[37:38], v[21:22], v[10:11]
	buffer_load_dword v37, off, s[24:27], 0 offset:3068 ; 4-byte Folded Reload
	buffer_load_dword v38, off, s[24:27], 0 offset:3072 ; 4-byte Folded Reload
	buffer_load_dword v39, off, s[24:27], 0 offset:3076 ; 4-byte Folded Reload
	buffer_load_dword v40, off, s[24:27], 0 offset:3080 ; 4-byte Folded Reload
	v_mul_f64 v[21:22], v[2:3], v[17:18]
	v_mul_f64 v[21:22], v[213:214], v[21:22]
	s_waitcnt vmcnt(2)
	v_fma_f64 v[10:11], v[37:38], v[21:22], v[10:11]
	buffer_load_dword v37, off, s[24:27], 0 offset:3084 ; 4-byte Folded Reload
	buffer_load_dword v38, off, s[24:27], 0 offset:3088 ; 4-byte Folded Reload
	buffer_load_dword v39, off, s[24:27], 0 offset:3092 ; 4-byte Folded Reload
	buffer_load_dword v40, off, s[24:27], 0 offset:3096 ; 4-byte Folded Reload
	v_mul_f64 v[21:22], v[4:5], v[17:18]
	v_mul_f64 v[21:22], v[247:248], v[21:22]
	;; [unrolled: 8-line block ×3, first 2 shown]
	v_mul_f64 v[21:22], v[243:244], v[21:22]
	v_mul_f64 v[17:18], v[127:128], v[17:18]
	s_waitcnt vmcnt(2)
	v_fma_f64 v[10:11], v[37:38], v[21:22], v[10:11]
	buffer_load_dword v21, off, s[24:27], s10 ; 4-byte Folded Reload
	buffer_load_dword v22, off, s[24:27], s10 offset:4 ; 4-byte Folded Reload
	buffer_load_dword v23, off, s[24:27], s10 offset:8 ; 4-byte Folded Reload
	;; [unrolled: 1-line block ×7, first 2 shown]
	s_mov_b32 s10, 0x41300
	s_waitcnt vmcnt(6)
	v_fma_f64 v[10:11], v[17:18], v[21:22], v[10:11]
	v_mul_f64 v[17:18], v[19:20], v[12:13]
	v_mul_f64 v[17:18], v[109:110], v[17:18]
	;; [unrolled: 1-line block ×4, first 2 shown]
	s_waitcnt vmcnt(2)
	v_fma_f64 v[10:11], v[21:22], v[37:38], v[10:11]
	buffer_load_dword v37, off, s[24:27], 0 offset:3148 ; 4-byte Folded Reload
	buffer_load_dword v38, off, s[24:27], 0 offset:3152 ; 4-byte Folded Reload
	buffer_load_dword v39, off, s[24:27], 0 offset:3156 ; 4-byte Folded Reload
	buffer_load_dword v40, off, s[24:27], 0 offset:3160 ; 4-byte Folded Reload
	v_mul_f64 v[21:22], v[2:3], v[17:18]
	v_mul_f64 v[21:22], v[213:214], v[21:22]
	s_waitcnt vmcnt(2)
	v_fma_f64 v[10:11], v[21:22], v[37:38], v[10:11]
	buffer_load_dword v37, off, s[24:27], 0 offset:3164 ; 4-byte Folded Reload
	buffer_load_dword v38, off, s[24:27], 0 offset:3168 ; 4-byte Folded Reload
	buffer_load_dword v39, off, s[24:27], 0 offset:3172 ; 4-byte Folded Reload
	buffer_load_dword v40, off, s[24:27], 0 offset:3176 ; 4-byte Folded Reload
	v_mul_f64 v[21:22], v[4:5], v[17:18]
	v_mul_f64 v[21:22], v[247:248], v[21:22]
	s_waitcnt vmcnt(2)
	v_fma_f64 v[10:11], v[21:22], v[37:38], v[10:11]
	buffer_load_dword v37, off, s[24:27], 0 offset:3180 ; 4-byte Folded Reload
	buffer_load_dword v38, off, s[24:27], 0 offset:3184 ; 4-byte Folded Reload
	buffer_load_dword v39, off, s[24:27], 0 offset:3188 ; 4-byte Folded Reload
	buffer_load_dword v40, off, s[24:27], 0 offset:3192 ; 4-byte Folded Reload
	v_mul_f64 v[21:22], v[6:7], v[17:18]
	v_mul_f64 v[17:18], v[8:9], v[17:18]
	v_mul_f64 v[21:22], v[243:244], v[21:22]
	v_mul_f64 v[17:18], v[127:128], v[17:18]
	s_waitcnt vmcnt(2)
	v_fma_f64 v[10:11], v[21:22], v[37:38], v[10:11]
	buffer_load_dword v21, off, s[24:27], 0 offset:3212 ; 4-byte Folded Reload
	buffer_load_dword v22, off, s[24:27], 0 offset:3216 ; 4-byte Folded Reload
	;; [unrolled: 1-line block ×8, first 2 shown]
	s_waitcnt vmcnt(6)
	v_fma_f64 v[10:11], v[17:18], v[21:22], v[10:11]
	v_mul_f64 v[17:18], v[25:26], v[12:13]
	v_mul_f64 v[17:18], v[201:202], v[17:18]
	v_mul_f64 v[21:22], v[0:1], v[17:18]
	v_mul_f64 v[21:22], v[217:218], v[21:22]
	s_waitcnt vmcnt(2)
	v_fma_f64 v[10:11], v[21:22], v[37:38], v[10:11]
	buffer_load_dword v37, off, s[24:27], s10 ; 4-byte Folded Reload
	buffer_load_dword v38, off, s[24:27], s10 offset:4 ; 4-byte Folded Reload
	buffer_load_dword v39, off, s[24:27], s10 offset:8 ; 4-byte Folded Reload
	;; [unrolled: 1-line block ×3, first 2 shown]
	v_mul_f64 v[21:22], v[2:3], v[17:18]
	s_mov_b32 s10, 0x3ff00
	v_mul_f64 v[21:22], v[213:214], v[21:22]
	s_waitcnt vmcnt(2)
	v_fma_f64 v[10:11], v[21:22], v[37:38], v[10:11]
	buffer_load_dword v37, off, s[24:27], 0 offset:3228 ; 4-byte Folded Reload
	buffer_load_dword v38, off, s[24:27], 0 offset:3232 ; 4-byte Folded Reload
	;; [unrolled: 1-line block ×4, first 2 shown]
	v_mul_f64 v[21:22], v[4:5], v[17:18]
	v_mul_f64 v[21:22], v[247:248], v[21:22]
	s_waitcnt vmcnt(2)
	v_fma_f64 v[10:11], v[21:22], v[37:38], v[10:11]
	buffer_load_dword v37, off, s[24:27], 0 offset:3244 ; 4-byte Folded Reload
	buffer_load_dword v38, off, s[24:27], 0 offset:3248 ; 4-byte Folded Reload
	;; [unrolled: 1-line block ×4, first 2 shown]
	v_mul_f64 v[21:22], v[6:7], v[17:18]
	v_mul_f64 v[17:18], v[8:9], v[17:18]
	;; [unrolled: 1-line block ×4, first 2 shown]
	s_waitcnt vmcnt(2)
	v_fma_f64 v[10:11], v[21:22], v[37:38], v[10:11]
	buffer_load_dword v21, off, s[24:27], 0 offset:3276 ; 4-byte Folded Reload
	buffer_load_dword v22, off, s[24:27], 0 offset:3280 ; 4-byte Folded Reload
	;; [unrolled: 1-line block ×8, first 2 shown]
	s_waitcnt vmcnt(6)
	v_fma_f64 v[10:11], v[17:18], v[21:22], v[10:11]
	v_mul_f64 v[17:18], v[27:28], v[12:13]
	v_mul_f64 v[12:13], v[29:30], v[12:13]
	;; [unrolled: 1-line block ×6, first 2 shown]
	s_waitcnt vmcnt(2)
	v_fma_f64 v[10:11], v[21:22], v[37:38], v[10:11]
	buffer_load_dword v37, off, s[24:27], 0 offset:3292 ; 4-byte Folded Reload
	buffer_load_dword v38, off, s[24:27], 0 offset:3296 ; 4-byte Folded Reload
	buffer_load_dword v39, off, s[24:27], 0 offset:3300 ; 4-byte Folded Reload
	buffer_load_dword v40, off, s[24:27], 0 offset:3304 ; 4-byte Folded Reload
	v_mul_f64 v[21:22], v[2:3], v[17:18]
	v_mul_f64 v[21:22], v[213:214], v[21:22]
	s_waitcnt vmcnt(2)
	v_fma_f64 v[10:11], v[21:22], v[37:38], v[10:11]
	buffer_load_dword v37, off, s[24:27], 0 offset:3308 ; 4-byte Folded Reload
	buffer_load_dword v38, off, s[24:27], 0 offset:3312 ; 4-byte Folded Reload
	buffer_load_dword v39, off, s[24:27], 0 offset:3316 ; 4-byte Folded Reload
	buffer_load_dword v40, off, s[24:27], 0 offset:3320 ; 4-byte Folded Reload
	v_mul_f64 v[21:22], v[4:5], v[17:18]
	v_mul_f64 v[21:22], v[247:248], v[21:22]
	;; [unrolled: 8-line block ×3, first 2 shown]
	v_mul_f64 v[21:22], v[243:244], v[21:22]
	v_mul_f64 v[17:18], v[127:128], v[17:18]
	s_waitcnt vmcnt(2)
	v_fma_f64 v[10:11], v[21:22], v[37:38], v[10:11]
	buffer_load_dword v21, off, s[24:27], 0 offset:3356 ; 4-byte Folded Reload
	buffer_load_dword v22, off, s[24:27], 0 offset:3360 ; 4-byte Folded Reload
	;; [unrolled: 1-line block ×4, first 2 shown]
	s_waitcnt vmcnt(2)
	v_fma_f64 v[10:11], v[17:18], v[21:22], v[10:11]
	buffer_load_dword v21, off, s[24:27], 0 offset:3340 ; 4-byte Folded Reload
	buffer_load_dword v22, off, s[24:27], 0 offset:3344 ; 4-byte Folded Reload
	buffer_load_dword v23, off, s[24:27], 0 offset:3348 ; 4-byte Folded Reload
	buffer_load_dword v24, off, s[24:27], 0 offset:3352 ; 4-byte Folded Reload
	v_mul_f64 v[17:18], v[0:1], v[12:13]
	v_mul_f64 v[17:18], v[217:218], v[17:18]
	s_waitcnt vmcnt(2)
	v_fma_f64 v[10:11], v[17:18], v[21:22], v[10:11]
	buffer_load_dword v21, off, s[24:27], 0 offset:3372 ; 4-byte Folded Reload
	buffer_load_dword v22, off, s[24:27], 0 offset:3376 ; 4-byte Folded Reload
	buffer_load_dword v23, off, s[24:27], 0 offset:3380 ; 4-byte Folded Reload
	buffer_load_dword v24, off, s[24:27], 0 offset:3384 ; 4-byte Folded Reload
	v_mul_f64 v[17:18], v[2:3], v[12:13]
	v_mul_f64 v[17:18], v[213:214], v[17:18]
	;; [unrolled: 8-line block ×4, first 2 shown]
	v_mul_f64 v[17:18], v[243:244], v[17:18]
	v_mul_f64 v[12:13], v[127:128], v[12:13]
	s_waitcnt vmcnt(2)
	v_fma_f64 v[10:11], v[17:18], v[21:22], v[10:11]
	buffer_load_dword v21, off, s[24:27], 0 offset:3484 ; 4-byte Folded Reload
	buffer_load_dword v22, off, s[24:27], 0 offset:3488 ; 4-byte Folded Reload
	;; [unrolled: 1-line block ×4, first 2 shown]
	s_waitcnt vmcnt(2)
	v_fma_f64 v[10:11], v[12:13], v[21:22], v[10:11]
	ds_read_b64 v[12:13], v36 offset:96
	ds_read_b64 v[17:18], v136 offset:96
	buffer_load_dword v37, off, s[24:27], 0 offset:3420 ; 4-byte Folded Reload
	buffer_load_dword v38, off, s[24:27], 0 offset:3424 ; 4-byte Folded Reload
	;; [unrolled: 1-line block ×4, first 2 shown]
	s_waitcnt lgkmcnt(0)
	v_mul_f64 v[12:13], v[12:13], v[17:18]
	v_mul_f64 v[17:18], v[15:16], v[12:13]
	;; [unrolled: 1-line block ×5, first 2 shown]
	s_waitcnt vmcnt(2)
	v_fma_f64 v[10:11], v[37:38], v[21:22], v[10:11]
	buffer_load_dword v37, off, s[24:27], 0 offset:3436 ; 4-byte Folded Reload
	buffer_load_dword v38, off, s[24:27], 0 offset:3440 ; 4-byte Folded Reload
	buffer_load_dword v39, off, s[24:27], 0 offset:3444 ; 4-byte Folded Reload
	buffer_load_dword v40, off, s[24:27], 0 offset:3448 ; 4-byte Folded Reload
	v_mul_f64 v[21:22], v[2:3], v[17:18]
	v_mul_f64 v[21:22], v[213:214], v[21:22]
	s_waitcnt vmcnt(2)
	v_fma_f64 v[10:11], v[37:38], v[21:22], v[10:11]
	buffer_load_dword v37, off, s[24:27], 0 offset:3452 ; 4-byte Folded Reload
	buffer_load_dword v38, off, s[24:27], 0 offset:3456 ; 4-byte Folded Reload
	buffer_load_dword v39, off, s[24:27], 0 offset:3460 ; 4-byte Folded Reload
	buffer_load_dword v40, off, s[24:27], 0 offset:3464 ; 4-byte Folded Reload
	v_mul_f64 v[21:22], v[4:5], v[17:18]
	v_mul_f64 v[21:22], v[247:248], v[21:22]
	s_waitcnt vmcnt(2)
	v_fma_f64 v[10:11], v[37:38], v[21:22], v[10:11]
	buffer_load_dword v37, off, s[24:27], 0 offset:3468 ; 4-byte Folded Reload
	buffer_load_dword v38, off, s[24:27], 0 offset:3472 ; 4-byte Folded Reload
	buffer_load_dword v39, off, s[24:27], 0 offset:3476 ; 4-byte Folded Reload
	buffer_load_dword v40, off, s[24:27], 0 offset:3480 ; 4-byte Folded Reload
	v_mul_f64 v[21:22], v[6:7], v[17:18]
	v_mul_f64 v[17:18], v[8:9], v[17:18]
	v_mul_f64 v[21:22], v[243:244], v[21:22]
	v_mul_f64 v[17:18], v[127:128], v[17:18]
	s_waitcnt vmcnt(2)
	v_fma_f64 v[10:11], v[37:38], v[21:22], v[10:11]
	buffer_load_dword v21, off, s[24:27], 0 offset:3516 ; 4-byte Folded Reload
	buffer_load_dword v22, off, s[24:27], 0 offset:3520 ; 4-byte Folded Reload
	buffer_load_dword v23, off, s[24:27], 0 offset:3524 ; 4-byte Folded Reload
	buffer_load_dword v24, off, s[24:27], 0 offset:3528 ; 4-byte Folded Reload
	buffer_load_dword v37, off, s[24:27], 0 offset:3500 ; 4-byte Folded Reload
	buffer_load_dword v38, off, s[24:27], 0 offset:3504 ; 4-byte Folded Reload
	buffer_load_dword v39, off, s[24:27], 0 offset:3508 ; 4-byte Folded Reload
	buffer_load_dword v40, off, s[24:27], 0 offset:3512 ; 4-byte Folded Reload
	s_waitcnt vmcnt(6)
	v_fma_f64 v[10:11], v[17:18], v[21:22], v[10:11]
	v_mul_f64 v[17:18], v[19:20], v[12:13]
	v_mul_f64 v[17:18], v[109:110], v[17:18]
	v_mul_f64 v[21:22], v[0:1], v[17:18]
	v_mul_f64 v[21:22], v[217:218], v[21:22]
	s_waitcnt vmcnt(2)
	v_fma_f64 v[10:11], v[21:22], v[37:38], v[10:11]
	buffer_load_dword v37, off, s[24:27], 0 offset:3532 ; 4-byte Folded Reload
	buffer_load_dword v38, off, s[24:27], 0 offset:3536 ; 4-byte Folded Reload
	buffer_load_dword v39, off, s[24:27], 0 offset:3540 ; 4-byte Folded Reload
	buffer_load_dword v40, off, s[24:27], 0 offset:3544 ; 4-byte Folded Reload
	v_mul_f64 v[21:22], v[2:3], v[17:18]
	v_mul_f64 v[21:22], v[213:214], v[21:22]
	s_waitcnt vmcnt(2)
	v_fma_f64 v[10:11], v[21:22], v[37:38], v[10:11]
	buffer_load_dword v37, off, s[24:27], 0 offset:3548 ; 4-byte Folded Reload
	buffer_load_dword v38, off, s[24:27], 0 offset:3552 ; 4-byte Folded Reload
	buffer_load_dword v39, off, s[24:27], 0 offset:3556 ; 4-byte Folded Reload
	buffer_load_dword v40, off, s[24:27], 0 offset:3560 ; 4-byte Folded Reload
	v_mul_f64 v[21:22], v[4:5], v[17:18]
	v_mul_f64 v[21:22], v[247:248], v[21:22]
	s_waitcnt vmcnt(2)
	v_fma_f64 v[10:11], v[21:22], v[37:38], v[10:11]
	buffer_load_dword v37, off, s[24:27], 0 offset:3564 ; 4-byte Folded Reload
	buffer_load_dword v38, off, s[24:27], 0 offset:3568 ; 4-byte Folded Reload
	buffer_load_dword v39, off, s[24:27], 0 offset:3572 ; 4-byte Folded Reload
	buffer_load_dword v40, off, s[24:27], 0 offset:3576 ; 4-byte Folded Reload
	v_mul_f64 v[21:22], v[6:7], v[17:18]
	v_mul_f64 v[17:18], v[8:9], v[17:18]
	v_mul_f64 v[21:22], v[243:244], v[21:22]
	v_mul_f64 v[17:18], v[127:128], v[17:18]
	s_waitcnt vmcnt(2)
	v_fma_f64 v[10:11], v[21:22], v[37:38], v[10:11]
	buffer_load_dword v21, off, s[24:27], 0 offset:3596 ; 4-byte Folded Reload
	buffer_load_dword v22, off, s[24:27], 0 offset:3600 ; 4-byte Folded Reload
	buffer_load_dword v23, off, s[24:27], 0 offset:3604 ; 4-byte Folded Reload
	buffer_load_dword v24, off, s[24:27], 0 offset:3608 ; 4-byte Folded Reload
	buffer_load_dword v37, off, s[24:27], 0 offset:3580 ; 4-byte Folded Reload
	buffer_load_dword v38, off, s[24:27], 0 offset:3584 ; 4-byte Folded Reload
	buffer_load_dword v39, off, s[24:27], 0 offset:3588 ; 4-byte Folded Reload
	buffer_load_dword v40, off, s[24:27], 0 offset:3592 ; 4-byte Folded Reload
	s_waitcnt vmcnt(6)
	v_fma_f64 v[10:11], v[17:18], v[21:22], v[10:11]
	v_mul_f64 v[17:18], v[25:26], v[12:13]
	v_mul_f64 v[17:18], v[201:202], v[17:18]
	v_mul_f64 v[21:22], v[0:1], v[17:18]
	v_mul_f64 v[21:22], v[217:218], v[21:22]
	;; [unrolled: 42-line block ×3, first 2 shown]
	v_mul_f64 v[21:22], v[0:1], v[17:18]
	v_mul_f64 v[21:22], v[217:218], v[21:22]
	s_waitcnt vmcnt(2)
	v_fma_f64 v[10:11], v[21:22], v[37:38], v[10:11]
	buffer_load_dword v37, off, s[24:27], 0 offset:3692 ; 4-byte Folded Reload
	buffer_load_dword v38, off, s[24:27], 0 offset:3696 ; 4-byte Folded Reload
	buffer_load_dword v39, off, s[24:27], 0 offset:3700 ; 4-byte Folded Reload
	buffer_load_dword v40, off, s[24:27], 0 offset:3704 ; 4-byte Folded Reload
	v_mul_f64 v[21:22], v[2:3], v[17:18]
	v_mul_f64 v[21:22], v[213:214], v[21:22]
	s_waitcnt vmcnt(2)
	v_fma_f64 v[10:11], v[21:22], v[37:38], v[10:11]
	buffer_load_dword v37, off, s[24:27], 0 offset:3708 ; 4-byte Folded Reload
	buffer_load_dword v38, off, s[24:27], 0 offset:3712 ; 4-byte Folded Reload
	buffer_load_dword v39, off, s[24:27], 0 offset:3716 ; 4-byte Folded Reload
	buffer_load_dword v40, off, s[24:27], 0 offset:3720 ; 4-byte Folded Reload
	;; [unrolled: 8-line block ×3, first 2 shown]
	v_mul_f64 v[21:22], v[6:7], v[17:18]
	v_mul_f64 v[17:18], v[8:9], v[17:18]
	;; [unrolled: 1-line block ×4, first 2 shown]
	s_waitcnt vmcnt(2)
	v_fma_f64 v[10:11], v[21:22], v[37:38], v[10:11]
	buffer_load_dword v21, off, s[24:27], 0 offset:3756 ; 4-byte Folded Reload
	buffer_load_dword v22, off, s[24:27], 0 offset:3760 ; 4-byte Folded Reload
	;; [unrolled: 1-line block ×4, first 2 shown]
	s_waitcnt vmcnt(2)
	v_fma_f64 v[10:11], v[17:18], v[21:22], v[10:11]
	buffer_load_dword v21, off, s[24:27], 0 offset:3740 ; 4-byte Folded Reload
	buffer_load_dword v22, off, s[24:27], 0 offset:3744 ; 4-byte Folded Reload
	buffer_load_dword v23, off, s[24:27], 0 offset:3748 ; 4-byte Folded Reload
	buffer_load_dword v24, off, s[24:27], 0 offset:3752 ; 4-byte Folded Reload
	v_mul_f64 v[17:18], v[0:1], v[12:13]
	v_mul_f64 v[17:18], v[217:218], v[17:18]
	s_waitcnt vmcnt(2)
	v_fma_f64 v[10:11], v[17:18], v[21:22], v[10:11]
	buffer_load_dword v21, off, s[24:27], 0 offset:3772 ; 4-byte Folded Reload
	buffer_load_dword v22, off, s[24:27], 0 offset:3776 ; 4-byte Folded Reload
	buffer_load_dword v23, off, s[24:27], 0 offset:3780 ; 4-byte Folded Reload
	buffer_load_dword v24, off, s[24:27], 0 offset:3784 ; 4-byte Folded Reload
	v_mul_f64 v[17:18], v[2:3], v[12:13]
	v_mul_f64 v[17:18], v[213:214], v[17:18]
	s_waitcnt vmcnt(2)
	v_fma_f64 v[10:11], v[17:18], v[21:22], v[10:11]
	buffer_load_dword v21, off, s[24:27], 0 offset:3788 ; 4-byte Folded Reload
	buffer_load_dword v22, off, s[24:27], 0 offset:3792 ; 4-byte Folded Reload
	buffer_load_dword v23, off, s[24:27], 0 offset:3796 ; 4-byte Folded Reload
	buffer_load_dword v24, off, s[24:27], 0 offset:3800 ; 4-byte Folded Reload
	v_mul_f64 v[17:18], v[4:5], v[12:13]
	v_mul_f64 v[17:18], v[247:248], v[17:18]
	s_waitcnt vmcnt(2)
	v_fma_f64 v[10:11], v[17:18], v[21:22], v[10:11]
	buffer_load_dword v21, off, s[24:27], 0 offset:3804 ; 4-byte Folded Reload
	buffer_load_dword v22, off, s[24:27], 0 offset:3808 ; 4-byte Folded Reload
	buffer_load_dword v23, off, s[24:27], 0 offset:3812 ; 4-byte Folded Reload
	buffer_load_dword v24, off, s[24:27], 0 offset:3816 ; 4-byte Folded Reload
	v_mul_f64 v[17:18], v[6:7], v[12:13]
	v_mul_f64 v[12:13], v[8:9], v[12:13]
	v_mul_f64 v[17:18], v[243:244], v[17:18]
	v_mul_f64 v[12:13], v[127:128], v[12:13]
	s_waitcnt vmcnt(2)
	v_fma_f64 v[10:11], v[17:18], v[21:22], v[10:11]
	buffer_load_dword v21, off, s[24:27], 0 offset:3884 ; 4-byte Folded Reload
	buffer_load_dword v22, off, s[24:27], 0 offset:3888 ; 4-byte Folded Reload
	;; [unrolled: 1-line block ×4, first 2 shown]
	s_waitcnt vmcnt(2)
	v_fma_f64 v[10:11], v[12:13], v[21:22], v[10:11]
	ds_read_b64 v[12:13], v36 offset:128
	ds_read_b64 v[17:18], v136 offset:128
	buffer_load_dword v21, off, s[24:27], 0 offset:3820 ; 4-byte Folded Reload
	buffer_load_dword v22, off, s[24:27], 0 offset:3824 ; 4-byte Folded Reload
	;; [unrolled: 1-line block ×4, first 2 shown]
	s_waitcnt lgkmcnt(0)
	v_mul_f64 v[12:13], v[12:13], v[17:18]
	v_mul_f64 v[14:15], v[15:16], v[12:13]
	;; [unrolled: 1-line block ×5, first 2 shown]
	s_waitcnt vmcnt(2)
	v_fma_f64 v[10:11], v[21:22], v[16:17], v[10:11]
	buffer_load_dword v21, off, s[24:27], 0 offset:3836 ; 4-byte Folded Reload
	buffer_load_dword v22, off, s[24:27], 0 offset:3840 ; 4-byte Folded Reload
	buffer_load_dword v23, off, s[24:27], 0 offset:3844 ; 4-byte Folded Reload
	buffer_load_dword v24, off, s[24:27], 0 offset:3848 ; 4-byte Folded Reload
	v_mul_f64 v[16:17], v[2:3], v[14:15]
	v_mul_f64 v[16:17], v[213:214], v[16:17]
	s_waitcnt vmcnt(2)
	v_fma_f64 v[10:11], v[21:22], v[16:17], v[10:11]
	buffer_load_dword v21, off, s[24:27], 0 offset:3852 ; 4-byte Folded Reload
	buffer_load_dword v22, off, s[24:27], 0 offset:3856 ; 4-byte Folded Reload
	buffer_load_dword v23, off, s[24:27], 0 offset:3860 ; 4-byte Folded Reload
	buffer_load_dword v24, off, s[24:27], 0 offset:3864 ; 4-byte Folded Reload
	v_mul_f64 v[16:17], v[4:5], v[14:15]
	v_mul_f64 v[16:17], v[247:248], v[16:17]
	;; [unrolled: 8-line block ×3, first 2 shown]
	v_mul_f64 v[16:17], v[243:244], v[16:17]
	v_mul_f64 v[14:15], v[127:128], v[14:15]
	s_waitcnt vmcnt(2)
	v_fma_f64 v[10:11], v[21:22], v[16:17], v[10:11]
	buffer_load_dword v21, off, s[24:27], 0 offset:3916 ; 4-byte Folded Reload
	buffer_load_dword v22, off, s[24:27], 0 offset:3920 ; 4-byte Folded Reload
	;; [unrolled: 1-line block ×4, first 2 shown]
	s_waitcnt vmcnt(2)
	v_fma_f64 v[10:11], v[14:15], v[21:22], v[10:11]
	v_mul_f64 v[14:15], v[19:20], v[12:13]
	buffer_load_dword v18, off, s[24:27], 0 offset:3900 ; 4-byte Folded Reload
	buffer_load_dword v19, off, s[24:27], 0 offset:3904 ; 4-byte Folded Reload
	;; [unrolled: 1-line block ×4, first 2 shown]
	v_mul_f64 v[14:15], v[109:110], v[14:15]
	v_mul_f64 v[16:17], v[0:1], v[14:15]
	;; [unrolled: 1-line block ×3, first 2 shown]
	s_waitcnt vmcnt(2)
	v_fma_f64 v[10:11], v[16:17], v[18:19], v[10:11]
	buffer_load_dword v18, off, s[24:27], 0 offset:3932 ; 4-byte Folded Reload
	buffer_load_dword v19, off, s[24:27], 0 offset:3936 ; 4-byte Folded Reload
	buffer_load_dword v20, off, s[24:27], 0 offset:3940 ; 4-byte Folded Reload
	buffer_load_dword v21, off, s[24:27], 0 offset:3944 ; 4-byte Folded Reload
	v_mul_f64 v[16:17], v[2:3], v[14:15]
	v_mul_f64 v[16:17], v[213:214], v[16:17]
	s_waitcnt vmcnt(2)
	v_fma_f64 v[10:11], v[16:17], v[18:19], v[10:11]
	buffer_load_dword v18, off, s[24:27], 0 offset:3948 ; 4-byte Folded Reload
	buffer_load_dword v19, off, s[24:27], 0 offset:3952 ; 4-byte Folded Reload
	buffer_load_dword v20, off, s[24:27], 0 offset:3956 ; 4-byte Folded Reload
	buffer_load_dword v21, off, s[24:27], 0 offset:3960 ; 4-byte Folded Reload
	v_mul_f64 v[16:17], v[4:5], v[14:15]
	v_mul_f64 v[16:17], v[247:248], v[16:17]
	;; [unrolled: 8-line block ×3, first 2 shown]
	v_mul_f64 v[16:17], v[243:244], v[16:17]
	v_mul_f64 v[14:15], v[127:128], v[14:15]
	s_waitcnt vmcnt(2)
	v_fma_f64 v[10:11], v[16:17], v[18:19], v[10:11]
	buffer_load_dword v16, off, s[24:27], 0 offset:3996 ; 4-byte Folded Reload
	buffer_load_dword v17, off, s[24:27], 0 offset:4000 ; 4-byte Folded Reload
	;; [unrolled: 1-line block ×8, first 2 shown]
	s_waitcnt vmcnt(6)
	v_fma_f64 v[10:11], v[14:15], v[16:17], v[10:11]
	v_mul_f64 v[14:15], v[25:26], v[12:13]
	v_mul_f64 v[14:15], v[201:202], v[14:15]
	;; [unrolled: 1-line block ×4, first 2 shown]
	s_waitcnt vmcnt(2)
	v_fma_f64 v[10:11], v[16:17], v[18:19], v[10:11]
	buffer_load_dword v18, off, s[24:27], 0 offset:4012 ; 4-byte Folded Reload
	buffer_load_dword v19, off, s[24:27], 0 offset:4016 ; 4-byte Folded Reload
	buffer_load_dword v20, off, s[24:27], 0 offset:4020 ; 4-byte Folded Reload
	buffer_load_dword v21, off, s[24:27], 0 offset:4024 ; 4-byte Folded Reload
	v_mul_f64 v[16:17], v[2:3], v[14:15]
	v_mul_f64 v[16:17], v[213:214], v[16:17]
	s_waitcnt vmcnt(2)
	v_fma_f64 v[10:11], v[16:17], v[18:19], v[10:11]
	buffer_load_dword v18, off, s[24:27], 0 offset:4028 ; 4-byte Folded Reload
	buffer_load_dword v19, off, s[24:27], 0 offset:4032 ; 4-byte Folded Reload
	buffer_load_dword v20, off, s[24:27], 0 offset:4036 ; 4-byte Folded Reload
	buffer_load_dword v21, off, s[24:27], 0 offset:4040 ; 4-byte Folded Reload
	v_mul_f64 v[16:17], v[4:5], v[14:15]
	v_mul_f64 v[16:17], v[247:248], v[16:17]
	;; [unrolled: 8-line block ×3, first 2 shown]
	v_mul_f64 v[16:17], v[243:244], v[16:17]
	v_mul_f64 v[14:15], v[127:128], v[14:15]
	s_waitcnt vmcnt(2)
	v_fma_f64 v[10:11], v[16:17], v[18:19], v[10:11]
	buffer_load_dword v16, off, s[24:27], 0 offset:4076 ; 4-byte Folded Reload
	buffer_load_dword v17, off, s[24:27], 0 offset:4080 ; 4-byte Folded Reload
	;; [unrolled: 1-line block ×8, first 2 shown]
	s_waitcnt vmcnt(6)
	v_fma_f64 v[10:11], v[14:15], v[16:17], v[10:11]
	v_mul_f64 v[14:15], v[27:28], v[12:13]
	v_mul_f64 v[12:13], v[29:30], v[12:13]
	;; [unrolled: 1-line block ×8, first 2 shown]
	s_waitcnt vmcnt(2)
	v_fma_f64 v[10:11], v[16:17], v[18:19], v[10:11]
	buffer_load_dword v18, off, s[24:27], s10 ; 4-byte Folded Reload
	buffer_load_dword v19, off, s[24:27], s10 offset:4 ; 4-byte Folded Reload
	buffer_load_dword v20, off, s[24:27], s10 offset:8 ; 4-byte Folded Reload
	;; [unrolled: 1-line block ×3, first 2 shown]
	v_mul_f64 v[16:17], v[2:3], v[14:15]
	s_mov_b32 s10, 0x40300
	v_mul_f64 v[2:3], v[2:3], v[12:13]
	v_mul_f64 v[16:17], v[213:214], v[16:17]
	v_mul_f64 v[2:3], v[213:214], v[2:3]
	s_waitcnt vmcnt(2)
	v_fma_f64 v[10:11], v[16:17], v[18:19], v[10:11]
	buffer_load_dword v18, off, s[24:27], s10 ; 4-byte Folded Reload
	buffer_load_dword v19, off, s[24:27], s10 offset:4 ; 4-byte Folded Reload
	buffer_load_dword v20, off, s[24:27], s10 offset:8 ; 4-byte Folded Reload
	;; [unrolled: 1-line block ×3, first 2 shown]
	v_mul_f64 v[16:17], v[4:5], v[14:15]
	s_mov_b32 s10, 0x40700
	v_mul_f64 v[16:17], v[247:248], v[16:17]
	s_waitcnt vmcnt(2)
	v_fma_f64 v[10:11], v[16:17], v[18:19], v[10:11]
	buffer_load_dword v18, off, s[24:27], s10 ; 4-byte Folded Reload
	buffer_load_dword v19, off, s[24:27], s10 offset:4 ; 4-byte Folded Reload
	buffer_load_dword v20, off, s[24:27], s10 offset:8 ; 4-byte Folded Reload
	;; [unrolled: 1-line block ×3, first 2 shown]
	v_mul_f64 v[16:17], v[6:7], v[14:15]
	s_mov_b32 s10, 0x40b00
	v_mul_f64 v[14:15], v[8:9], v[14:15]
	v_mul_f64 v[16:17], v[243:244], v[16:17]
	;; [unrolled: 1-line block ×3, first 2 shown]
	s_waitcnt vmcnt(2)
	v_fma_f64 v[10:11], v[16:17], v[18:19], v[10:11]
	buffer_load_dword v16, off, s[24:27], s10 ; 4-byte Folded Reload
	buffer_load_dword v17, off, s[24:27], s10 offset:4 ; 4-byte Folded Reload
	buffer_load_dword v18, off, s[24:27], s10 offset:8 ; 4-byte Folded Reload
	;; [unrolled: 1-line block ×3, first 2 shown]
	s_mov_b32 s10, 0x40f00
	s_waitcnt vmcnt(2)
	v_fma_f64 v[10:11], v[14:15], v[16:17], v[10:11]
	v_fma_f64 v[0:1], v[0:1], v[169:170], v[10:11]
	;; [unrolled: 1-line block ×3, first 2 shown]
	v_mul_f64 v[2:3], v[4:5], v[12:13]
	ds_read_b64 v[4:5], v255 offset:992
	v_mul_f64 v[2:3], v[247:248], v[2:3]
	v_fma_f64 v[0:1], v[2:3], v[177:178], v[0:1]
	v_mul_f64 v[2:3], v[6:7], v[12:13]
	v_mul_f64 v[2:3], v[243:244], v[2:3]
	v_fma_f64 v[0:1], v[2:3], v[173:174], v[0:1]
	v_mul_f64 v[2:3], v[8:9], v[12:13]
	v_mul_f64 v[2:3], v[127:128], v[2:3]
	s_waitcnt lgkmcnt(0)
	v_fma_f64 v[0:1], v[2:3], v[4:5], v[0:1]
	global_store_dwordx2 v[253:254], v[0:1], off offset:2048
	ds_read_b64 v[11:12], v131 offset:128
	ds_read_b64 v[13:14], v255 offset:1160
	;; [unrolled: 1-line block ×3, first 2 shown]
	buffer_load_dword v0, off, s[24:27], 0 offset:2532 ; 4-byte Folded Reload
	buffer_load_dword v1, off, s[24:27], 0 offset:2536 ; 4-byte Folded Reload
	;; [unrolled: 1-line block ×20, first 2 shown]
	s_waitcnt vmcnt(14)
	v_mul_f64 v[0:1], v[2:3], v[0:1]
	s_waitcnt vmcnt(10)
	v_mul_f64 v[2:3], v[25:26], v[0:1]
	v_mul_f64 v[2:3], v[191:192], v[2:3]
	;; [unrolled: 1-line block ×4, first 2 shown]
	s_waitcnt vmcnt(6)
	v_fma_f64 v[4:5], v[6:7], v[4:5], 0
	v_mul_f64 v[6:7], v[187:188], v[2:3]
	v_mul_f64 v[6:7], v[183:184], v[6:7]
	s_waitcnt vmcnt(2)
	v_fma_f64 v[4:5], v[17:18], v[6:7], v[4:5]
	buffer_load_dword v17, off, s[24:27], 0 offset:2740 ; 4-byte Folded Reload
	buffer_load_dword v18, off, s[24:27], 0 offset:2744 ; 4-byte Folded Reload
	buffer_load_dword v19, off, s[24:27], 0 offset:2748 ; 4-byte Folded Reload
	buffer_load_dword v20, off, s[24:27], 0 offset:2752 ; 4-byte Folded Reload
	v_mul_f64 v[6:7], v[179:180], v[2:3]
	v_mul_f64 v[6:7], v[175:176], v[6:7]
	s_waitcnt vmcnt(2)
	v_fma_f64 v[4:5], v[17:18], v[6:7], v[4:5]
	buffer_load_dword v17, off, s[24:27], 0 offset:2148 ; 4-byte Folded Reload
	buffer_load_dword v18, off, s[24:27], 0 offset:2152 ; 4-byte Folded Reload
	;; [unrolled: 1-line block ×4, first 2 shown]
	v_mul_f64 v[6:7], v[171:172], v[2:3]
	s_waitcnt lgkmcnt(2)
	v_mul_f64 v[2:3], v[11:12], v[2:3]
	v_mul_f64 v[6:7], v[117:118], v[6:7]
	s_waitcnt lgkmcnt(1)
	v_mul_f64 v[2:3], v[13:14], v[2:3]
	s_waitcnt vmcnt(2)
	v_fma_f64 v[4:5], v[17:18], v[6:7], v[4:5]
	buffer_load_dword v6, off, s[24:27], 0 offset:2196 ; 4-byte Folded Reload
	buffer_load_dword v7, off, s[24:27], 0 offset:2200 ; 4-byte Folded Reload
	;; [unrolled: 1-line block ×4, first 2 shown]
	buffer_load_dword v27, off, s[24:27], s10 ; 4-byte Folded Reload
	buffer_load_dword v28, off, s[24:27], s10 offset:4 ; 4-byte Folded Reload
	buffer_load_dword v29, off, s[24:27], s10 offset:8 ; 4-byte Folded Reload
	;; [unrolled: 1-line block ×7, first 2 shown]
	s_mov_b32 s10, 0x41700
	s_waitcnt vmcnt(10)
	v_fma_f64 v[2:3], v[2:3], v[6:7], v[4:5]
	s_waitcnt vmcnt(6)
	v_mul_f64 v[4:5], v[27:28], v[0:1]
	v_mul_f64 v[4:5], v[183:184], v[4:5]
	v_mul_f64 v[6:7], v[195:196], v[4:5]
	v_mul_f64 v[6:7], v[191:192], v[6:7]
	s_waitcnt vmcnt(2)
	v_fma_f64 v[2:3], v[6:7], v[17:18], v[2:3]
	buffer_load_dword v17, off, s[24:27], 0 offset:2164 ; 4-byte Folded Reload
	buffer_load_dword v18, off, s[24:27], 0 offset:2168 ; 4-byte Folded Reload
	buffer_load_dword v19, off, s[24:27], 0 offset:2172 ; 4-byte Folded Reload
	buffer_load_dword v20, off, s[24:27], 0 offset:2176 ; 4-byte Folded Reload
	v_mul_f64 v[6:7], v[187:188], v[4:5]
	v_mul_f64 v[6:7], v[183:184], v[6:7]
	s_waitcnt vmcnt(2)
	v_fma_f64 v[2:3], v[6:7], v[17:18], v[2:3]
	buffer_load_dword v17, off, s[24:27], 0 offset:2212 ; 4-byte Folded Reload
	buffer_load_dword v18, off, s[24:27], 0 offset:2216 ; 4-byte Folded Reload
	buffer_load_dword v19, off, s[24:27], 0 offset:2220 ; 4-byte Folded Reload
	buffer_load_dword v20, off, s[24:27], 0 offset:2224 ; 4-byte Folded Reload
	v_mul_f64 v[6:7], v[179:180], v[4:5]
	v_mul_f64 v[6:7], v[175:176], v[6:7]
	s_waitcnt vmcnt(2)
	v_fma_f64 v[2:3], v[6:7], v[17:18], v[2:3]
	buffer_load_dword v17, off, s[24:27], 0 offset:2228 ; 4-byte Folded Reload
	buffer_load_dword v18, off, s[24:27], 0 offset:2232 ; 4-byte Folded Reload
	buffer_load_dword v19, off, s[24:27], 0 offset:2236 ; 4-byte Folded Reload
	buffer_load_dword v20, off, s[24:27], 0 offset:2240 ; 4-byte Folded Reload
	v_mul_f64 v[6:7], v[171:172], v[4:5]
	v_mul_f64 v[4:5], v[11:12], v[4:5]
	v_mul_f64 v[6:7], v[117:118], v[6:7]
	v_mul_f64 v[4:5], v[13:14], v[4:5]
	s_waitcnt vmcnt(2)
	v_fma_f64 v[2:3], v[6:7], v[17:18], v[2:3]
	buffer_load_dword v6, off, s[24:27], 0 offset:2260 ; 4-byte Folded Reload
	buffer_load_dword v7, off, s[24:27], 0 offset:2264 ; 4-byte Folded Reload
	;; [unrolled: 1-line block ×12, first 2 shown]
	s_waitcnt vmcnt(4)
	v_mov_b32_e32 v23, v25
	v_mov_b32_e32 v24, v26
	;; [unrolled: 1-line block ×4, first 2 shown]
	v_fma_f64 v[2:3], v[4:5], v[6:7], v[2:3]
	v_mul_f64 v[4:5], v[21:22], v[0:1]
	v_mul_f64 v[4:5], v[175:176], v[4:5]
	;; [unrolled: 1-line block ×4, first 2 shown]
	s_waitcnt vmcnt(2)
	v_fma_f64 v[2:3], v[6:7], v[17:18], v[2:3]
	buffer_load_dword v17, off, s[24:27], 0 offset:2276 ; 4-byte Folded Reload
	buffer_load_dword v18, off, s[24:27], 0 offset:2280 ; 4-byte Folded Reload
	buffer_load_dword v19, off, s[24:27], 0 offset:2284 ; 4-byte Folded Reload
	buffer_load_dword v20, off, s[24:27], 0 offset:2288 ; 4-byte Folded Reload
	v_mul_f64 v[6:7], v[187:188], v[4:5]
	v_mul_f64 v[6:7], v[183:184], v[6:7]
	s_waitcnt vmcnt(2)
	v_fma_f64 v[2:3], v[6:7], v[17:18], v[2:3]
	buffer_load_dword v17, off, s[24:27], 0 offset:2548 ; 4-byte Folded Reload
	buffer_load_dword v18, off, s[24:27], 0 offset:2552 ; 4-byte Folded Reload
	buffer_load_dword v19, off, s[24:27], 0 offset:2556 ; 4-byte Folded Reload
	buffer_load_dword v20, off, s[24:27], 0 offset:2560 ; 4-byte Folded Reload
	v_mul_f64 v[6:7], v[179:180], v[4:5]
	v_mul_f64 v[6:7], v[175:176], v[6:7]
	;; [unrolled: 8-line block ×3, first 2 shown]
	v_mul_f64 v[6:7], v[117:118], v[6:7]
	v_mul_f64 v[4:5], v[13:14], v[4:5]
	s_waitcnt vmcnt(2)
	v_fma_f64 v[2:3], v[6:7], v[17:18], v[2:3]
	buffer_load_dword v6, off, s[24:27], 0 offset:2596 ; 4-byte Folded Reload
	buffer_load_dword v7, off, s[24:27], 0 offset:2600 ; 4-byte Folded Reload
	;; [unrolled: 1-line block ×4, first 2 shown]
	buffer_load_dword v29, off, s[24:27], s10 ; 4-byte Folded Reload
	buffer_load_dword v30, off, s[24:27], s10 offset:4 ; 4-byte Folded Reload
	buffer_load_dword v31, off, s[24:27], s10 offset:8 ; 4-byte Folded Reload
	;; [unrolled: 1-line block ×7, first 2 shown]
	s_waitcnt vmcnt(10)
	v_fma_f64 v[2:3], v[4:5], v[6:7], v[2:3]
	s_waitcnt vmcnt(6)
	v_mul_f64 v[4:5], v[29:30], v[0:1]
	s_waitcnt lgkmcnt(0)
	v_mul_f64 v[0:1], v[15:16], v[0:1]
	v_mov_b32_e32 v27, v29
	v_mov_b32_e32 v28, v30
	v_mul_f64 v[4:5], v[117:118], v[4:5]
	v_mul_f64 v[0:1], v[13:14], v[0:1]
	;; [unrolled: 1-line block ×4, first 2 shown]
	s_waitcnt vmcnt(2)
	v_fma_f64 v[2:3], v[6:7], v[17:18], v[2:3]
	buffer_load_dword v17, off, s[24:27], 0 offset:2612 ; 4-byte Folded Reload
	buffer_load_dword v18, off, s[24:27], 0 offset:2616 ; 4-byte Folded Reload
	buffer_load_dword v19, off, s[24:27], 0 offset:2620 ; 4-byte Folded Reload
	buffer_load_dword v20, off, s[24:27], 0 offset:2624 ; 4-byte Folded Reload
	v_mul_f64 v[6:7], v[187:188], v[4:5]
	v_mul_f64 v[6:7], v[183:184], v[6:7]
	s_waitcnt vmcnt(2)
	v_fma_f64 v[2:3], v[6:7], v[17:18], v[2:3]
	buffer_load_dword v17, off, s[24:27], 0 offset:2628 ; 4-byte Folded Reload
	buffer_load_dword v18, off, s[24:27], 0 offset:2632 ; 4-byte Folded Reload
	buffer_load_dword v19, off, s[24:27], 0 offset:2636 ; 4-byte Folded Reload
	buffer_load_dword v20, off, s[24:27], 0 offset:2640 ; 4-byte Folded Reload
	v_mul_f64 v[6:7], v[179:180], v[4:5]
	v_mul_f64 v[6:7], v[175:176], v[6:7]
	;; [unrolled: 8-line block ×3, first 2 shown]
	v_mul_f64 v[6:7], v[117:118], v[6:7]
	v_mul_f64 v[4:5], v[13:14], v[4:5]
	s_waitcnt vmcnt(2)
	v_fma_f64 v[2:3], v[6:7], v[17:18], v[2:3]
	buffer_load_dword v6, off, s[24:27], 0 offset:2676 ; 4-byte Folded Reload
	buffer_load_dword v7, off, s[24:27], 0 offset:2680 ; 4-byte Folded Reload
	;; [unrolled: 1-line block ×4, first 2 shown]
	s_waitcnt vmcnt(2)
	v_fma_f64 v[2:3], v[4:5], v[6:7], v[2:3]
	buffer_load_dword v6, off, s[24:27], 0 offset:2660 ; 4-byte Folded Reload
	buffer_load_dword v7, off, s[24:27], 0 offset:2664 ; 4-byte Folded Reload
	buffer_load_dword v8, off, s[24:27], 0 offset:2668 ; 4-byte Folded Reload
	buffer_load_dword v9, off, s[24:27], 0 offset:2672 ; 4-byte Folded Reload
	v_mul_f64 v[4:5], v[195:196], v[0:1]
	v_mul_f64 v[4:5], v[191:192], v[4:5]
	s_waitcnt vmcnt(2)
	v_fma_f64 v[2:3], v[4:5], v[6:7], v[2:3]
	buffer_load_dword v6, off, s[24:27], 0 offset:2692 ; 4-byte Folded Reload
	buffer_load_dword v7, off, s[24:27], 0 offset:2696 ; 4-byte Folded Reload
	buffer_load_dword v8, off, s[24:27], 0 offset:2700 ; 4-byte Folded Reload
	buffer_load_dword v9, off, s[24:27], 0 offset:2704 ; 4-byte Folded Reload
	v_mul_f64 v[4:5], v[187:188], v[0:1]
	v_mul_f64 v[4:5], v[183:184], v[4:5]
	;; [unrolled: 8-line block ×4, first 2 shown]
	v_mul_f64 v[4:5], v[117:118], v[4:5]
	v_mul_f64 v[0:1], v[13:14], v[0:1]
	s_waitcnt vmcnt(2)
	v_fma_f64 v[2:3], v[4:5], v[6:7], v[2:3]
	buffer_load_dword v4, off, s[24:27], 0 offset:2756 ; 4-byte Folded Reload
	buffer_load_dword v5, off, s[24:27], 0 offset:2760 ; 4-byte Folded Reload
	;; [unrolled: 1-line block ×4, first 2 shown]
	s_waitcnt vmcnt(2)
	v_fma_f64 v[0:1], v[0:1], v[4:5], v[2:3]
	buffer_load_dword v2, off, s[24:27], 0 offset:2004 ; 4-byte Folded Reload
	buffer_load_dword v3, off, s[24:27], 0 offset:2008 ; 4-byte Folded Reload
	buffer_load_dword v4, off, s[24:27], 0 offset:2012 ; 4-byte Folded Reload
	buffer_load_dword v5, off, s[24:27], 0 offset:2016 ; 4-byte Folded Reload
	buffer_load_dword v4, off, s[24:27], 0 offset:596 ; 4-byte Folded Reload
	buffer_load_dword v5, off, s[24:27], 0 offset:600 ; 4-byte Folded Reload
	buffer_load_dword v6, off, s[24:27], 0 offset:604 ; 4-byte Folded Reload
	buffer_load_dword v7, off, s[24:27], 0 offset:608 ; 4-byte Folded Reload
	buffer_load_dword v17, off, s[24:27], 0 offset:2020 ; 4-byte Folded Reload
	buffer_load_dword v18, off, s[24:27], 0 offset:2024 ; 4-byte Folded Reload
	buffer_load_dword v19, off, s[24:27], 0 offset:2028 ; 4-byte Folded Reload
	buffer_load_dword v20, off, s[24:27], 0 offset:2032 ; 4-byte Folded Reload
	s_waitcnt vmcnt(6)
	v_mul_f64 v[2:3], v[2:3], v[4:5]
	v_mul_f64 v[4:5], v[23:24], v[2:3]
	;; [unrolled: 1-line block ×3, first 2 shown]
	s_waitcnt vmcnt(4)
	v_mul_f64 v[6:7], v[195:196], v[4:5]
	v_mul_f64 v[6:7], v[191:192], v[6:7]
	s_waitcnt vmcnt(2)
	v_fma_f64 v[0:1], v[17:18], v[6:7], v[0:1]
	buffer_load_dword v17, off, s[24:27], 0 offset:2036 ; 4-byte Folded Reload
	buffer_load_dword v18, off, s[24:27], 0 offset:2040 ; 4-byte Folded Reload
	buffer_load_dword v19, off, s[24:27], 0 offset:2044 ; 4-byte Folded Reload
	buffer_load_dword v20, off, s[24:27], 0 offset:2048 ; 4-byte Folded Reload
	v_mul_f64 v[6:7], v[187:188], v[4:5]
	v_mul_f64 v[6:7], v[183:184], v[6:7]
	s_waitcnt vmcnt(2)
	v_fma_f64 v[0:1], v[17:18], v[6:7], v[0:1]
	buffer_load_dword v17, off, s[24:27], 0 offset:2052 ; 4-byte Folded Reload
	buffer_load_dword v18, off, s[24:27], 0 offset:2056 ; 4-byte Folded Reload
	buffer_load_dword v19, off, s[24:27], 0 offset:2060 ; 4-byte Folded Reload
	buffer_load_dword v20, off, s[24:27], 0 offset:2064 ; 4-byte Folded Reload
	v_mul_f64 v[6:7], v[179:180], v[4:5]
	v_mul_f64 v[6:7], v[175:176], v[6:7]
	s_waitcnt vmcnt(2)
	v_fma_f64 v[0:1], v[17:18], v[6:7], v[0:1]
	buffer_load_dword v17, off, s[24:27], 0 offset:2068 ; 4-byte Folded Reload
	buffer_load_dword v18, off, s[24:27], 0 offset:2072 ; 4-byte Folded Reload
	buffer_load_dword v19, off, s[24:27], 0 offset:2076 ; 4-byte Folded Reload
	buffer_load_dword v20, off, s[24:27], 0 offset:2080 ; 4-byte Folded Reload
	v_mul_f64 v[6:7], v[171:172], v[4:5]
	v_mul_f64 v[4:5], v[11:12], v[4:5]
	v_mul_f64 v[6:7], v[117:118], v[6:7]
	v_mul_f64 v[4:5], v[13:14], v[4:5]
	s_waitcnt vmcnt(2)
	v_fma_f64 v[0:1], v[17:18], v[6:7], v[0:1]
	buffer_load_dword v6, off, s[24:27], 0 offset:2100 ; 4-byte Folded Reload
	buffer_load_dword v7, off, s[24:27], 0 offset:2104 ; 4-byte Folded Reload
	buffer_load_dword v8, off, s[24:27], 0 offset:2108 ; 4-byte Folded Reload
	buffer_load_dword v9, off, s[24:27], 0 offset:2112 ; 4-byte Folded Reload
	buffer_load_dword v17, off, s[24:27], 0 offset:2084 ; 4-byte Folded Reload
	buffer_load_dword v18, off, s[24:27], 0 offset:2088 ; 4-byte Folded Reload
	buffer_load_dword v19, off, s[24:27], 0 offset:2092 ; 4-byte Folded Reload
	buffer_load_dword v20, off, s[24:27], 0 offset:2096 ; 4-byte Folded Reload
	s_waitcnt vmcnt(6)
	v_fma_f64 v[0:1], v[4:5], v[6:7], v[0:1]
	v_mul_f64 v[4:5], v[25:26], v[2:3]
	v_mul_f64 v[4:5], v[183:184], v[4:5]
	v_mul_f64 v[6:7], v[195:196], v[4:5]
	v_mul_f64 v[6:7], v[191:192], v[6:7]
	s_waitcnt vmcnt(2)
	v_fma_f64 v[0:1], v[6:7], v[17:18], v[0:1]
	buffer_load_dword v17, off, s[24:27], 0 offset:2116 ; 4-byte Folded Reload
	buffer_load_dword v18, off, s[24:27], 0 offset:2120 ; 4-byte Folded Reload
	buffer_load_dword v19, off, s[24:27], 0 offset:2124 ; 4-byte Folded Reload
	buffer_load_dword v20, off, s[24:27], 0 offset:2128 ; 4-byte Folded Reload
	v_mul_f64 v[6:7], v[187:188], v[4:5]
	v_mul_f64 v[6:7], v[183:184], v[6:7]
	s_waitcnt vmcnt(2)
	v_fma_f64 v[0:1], v[6:7], v[17:18], v[0:1]
	buffer_load_dword v17, off, s[24:27], 0 offset:1716 ; 4-byte Folded Reload
	buffer_load_dword v18, off, s[24:27], 0 offset:1720 ; 4-byte Folded Reload
	buffer_load_dword v19, off, s[24:27], 0 offset:1724 ; 4-byte Folded Reload
	buffer_load_dword v20, off, s[24:27], 0 offset:1728 ; 4-byte Folded Reload
	v_mul_f64 v[6:7], v[179:180], v[4:5]
	v_mul_f64 v[6:7], v[175:176], v[6:7]
	s_waitcnt vmcnt(2)
	v_fma_f64 v[0:1], v[6:7], v[17:18], v[0:1]
	buffer_load_dword v17, off, s[24:27], 0 offset:1748 ; 4-byte Folded Reload
	buffer_load_dword v18, off, s[24:27], 0 offset:1752 ; 4-byte Folded Reload
	buffer_load_dword v19, off, s[24:27], 0 offset:1756 ; 4-byte Folded Reload
	buffer_load_dword v20, off, s[24:27], 0 offset:1760 ; 4-byte Folded Reload
	v_mul_f64 v[6:7], v[171:172], v[4:5]
	v_mul_f64 v[4:5], v[11:12], v[4:5]
	v_mul_f64 v[6:7], v[117:118], v[6:7]
	v_mul_f64 v[4:5], v[13:14], v[4:5]
	s_waitcnt vmcnt(2)
	v_fma_f64 v[0:1], v[6:7], v[17:18], v[0:1]
	buffer_load_dword v6, off, s[24:27], 0 offset:1796 ; 4-byte Folded Reload
	buffer_load_dword v7, off, s[24:27], 0 offset:1800 ; 4-byte Folded Reload
	buffer_load_dword v8, off, s[24:27], 0 offset:1804 ; 4-byte Folded Reload
	buffer_load_dword v9, off, s[24:27], 0 offset:1808 ; 4-byte Folded Reload
	buffer_load_dword v17, off, s[24:27], 0 offset:1764 ; 4-byte Folded Reload
	buffer_load_dword v18, off, s[24:27], 0 offset:1768 ; 4-byte Folded Reload
	buffer_load_dword v19, off, s[24:27], 0 offset:1772 ; 4-byte Folded Reload
	buffer_load_dword v20, off, s[24:27], 0 offset:1776 ; 4-byte Folded Reload
	s_waitcnt vmcnt(6)
	v_fma_f64 v[0:1], v[4:5], v[6:7], v[0:1]
	v_mul_f64 v[4:5], v[21:22], v[2:3]
	v_mul_f64 v[4:5], v[175:176], v[4:5]
	;; [unrolled: 42-line block ×3, first 2 shown]
	v_mul_f64 v[4:5], v[117:118], v[4:5]
	v_mul_f64 v[2:3], v[13:14], v[2:3]
	;; [unrolled: 1-line block ×4, first 2 shown]
	s_waitcnt vmcnt(2)
	v_fma_f64 v[0:1], v[6:7], v[17:18], v[0:1]
	buffer_load_dword v17, off, s[24:27], 0 offset:1860 ; 4-byte Folded Reload
	buffer_load_dword v18, off, s[24:27], 0 offset:1864 ; 4-byte Folded Reload
	buffer_load_dword v19, off, s[24:27], 0 offset:1868 ; 4-byte Folded Reload
	buffer_load_dword v20, off, s[24:27], 0 offset:1872 ; 4-byte Folded Reload
	v_mul_f64 v[6:7], v[187:188], v[4:5]
	v_mul_f64 v[6:7], v[183:184], v[6:7]
	s_waitcnt vmcnt(2)
	v_fma_f64 v[0:1], v[6:7], v[17:18], v[0:1]
	buffer_load_dword v17, off, s[24:27], 0 offset:1876 ; 4-byte Folded Reload
	buffer_load_dword v18, off, s[24:27], 0 offset:1880 ; 4-byte Folded Reload
	buffer_load_dword v19, off, s[24:27], 0 offset:1884 ; 4-byte Folded Reload
	buffer_load_dword v20, off, s[24:27], 0 offset:1888 ; 4-byte Folded Reload
	v_mul_f64 v[6:7], v[179:180], v[4:5]
	v_mul_f64 v[6:7], v[175:176], v[6:7]
	;; [unrolled: 8-line block ×3, first 2 shown]
	v_mul_f64 v[6:7], v[117:118], v[6:7]
	v_mul_f64 v[4:5], v[13:14], v[4:5]
	s_waitcnt vmcnt(2)
	v_fma_f64 v[0:1], v[6:7], v[17:18], v[0:1]
	buffer_load_dword v6, off, s[24:27], 0 offset:1924 ; 4-byte Folded Reload
	buffer_load_dword v7, off, s[24:27], 0 offset:1928 ; 4-byte Folded Reload
	;; [unrolled: 1-line block ×4, first 2 shown]
	s_waitcnt vmcnt(2)
	v_fma_f64 v[0:1], v[4:5], v[6:7], v[0:1]
	buffer_load_dword v6, off, s[24:27], 0 offset:1908 ; 4-byte Folded Reload
	buffer_load_dword v7, off, s[24:27], 0 offset:1912 ; 4-byte Folded Reload
	buffer_load_dword v8, off, s[24:27], 0 offset:1916 ; 4-byte Folded Reload
	buffer_load_dword v9, off, s[24:27], 0 offset:1920 ; 4-byte Folded Reload
	v_mul_f64 v[4:5], v[195:196], v[2:3]
	v_mul_f64 v[4:5], v[191:192], v[4:5]
	s_waitcnt vmcnt(2)
	v_fma_f64 v[0:1], v[4:5], v[6:7], v[0:1]
	buffer_load_dword v6, off, s[24:27], 0 offset:1940 ; 4-byte Folded Reload
	buffer_load_dword v7, off, s[24:27], 0 offset:1944 ; 4-byte Folded Reload
	buffer_load_dword v8, off, s[24:27], 0 offset:1948 ; 4-byte Folded Reload
	buffer_load_dword v9, off, s[24:27], 0 offset:1952 ; 4-byte Folded Reload
	v_mul_f64 v[4:5], v[187:188], v[2:3]
	v_mul_f64 v[4:5], v[183:184], v[4:5]
	;; [unrolled: 8-line block ×4, first 2 shown]
	v_mul_f64 v[4:5], v[117:118], v[4:5]
	v_mul_f64 v[2:3], v[13:14], v[2:3]
	s_waitcnt vmcnt(2)
	v_fma_f64 v[0:1], v[4:5], v[6:7], v[0:1]
	buffer_load_dword v4, off, s[24:27], 0 offset:1988 ; 4-byte Folded Reload
	buffer_load_dword v5, off, s[24:27], 0 offset:1992 ; 4-byte Folded Reload
	;; [unrolled: 1-line block ×4, first 2 shown]
	s_waitcnt vmcnt(2)
	v_fma_f64 v[0:1], v[2:3], v[4:5], v[0:1]
	buffer_load_dword v2, off, s[24:27], 0 offset:1700 ; 4-byte Folded Reload
	buffer_load_dword v3, off, s[24:27], 0 offset:1704 ; 4-byte Folded Reload
	;; [unrolled: 1-line block ×12, first 2 shown]
	s_waitcnt vmcnt(6)
	v_mul_f64 v[2:3], v[2:3], v[4:5]
	v_mul_f64 v[4:5], v[23:24], v[2:3]
	;; [unrolled: 1-line block ×3, first 2 shown]
	s_waitcnt vmcnt(4)
	v_mul_f64 v[6:7], v[195:196], v[4:5]
	v_mul_f64 v[6:7], v[191:192], v[6:7]
	s_waitcnt vmcnt(2)
	v_fma_f64 v[0:1], v[17:18], v[6:7], v[0:1]
	buffer_load_dword v17, off, s[24:27], 0 offset:1316 ; 4-byte Folded Reload
	buffer_load_dword v18, off, s[24:27], 0 offset:1320 ; 4-byte Folded Reload
	buffer_load_dword v19, off, s[24:27], 0 offset:1324 ; 4-byte Folded Reload
	buffer_load_dword v20, off, s[24:27], 0 offset:1328 ; 4-byte Folded Reload
	v_mul_f64 v[6:7], v[187:188], v[4:5]
	v_mul_f64 v[6:7], v[183:184], v[6:7]
	s_waitcnt vmcnt(2)
	v_fma_f64 v[0:1], v[17:18], v[6:7], v[0:1]
	buffer_load_dword v17, off, s[24:27], 0 offset:1332 ; 4-byte Folded Reload
	buffer_load_dword v18, off, s[24:27], 0 offset:1336 ; 4-byte Folded Reload
	buffer_load_dword v19, off, s[24:27], 0 offset:1340 ; 4-byte Folded Reload
	buffer_load_dword v20, off, s[24:27], 0 offset:1344 ; 4-byte Folded Reload
	v_mul_f64 v[6:7], v[179:180], v[4:5]
	v_mul_f64 v[6:7], v[175:176], v[6:7]
	s_waitcnt vmcnt(2)
	v_fma_f64 v[0:1], v[17:18], v[6:7], v[0:1]
	buffer_load_dword v17, off, s[24:27], 0 offset:1348 ; 4-byte Folded Reload
	buffer_load_dword v18, off, s[24:27], 0 offset:1352 ; 4-byte Folded Reload
	buffer_load_dword v19, off, s[24:27], 0 offset:1356 ; 4-byte Folded Reload
	buffer_load_dword v20, off, s[24:27], 0 offset:1360 ; 4-byte Folded Reload
	v_mul_f64 v[6:7], v[171:172], v[4:5]
	v_mul_f64 v[4:5], v[11:12], v[4:5]
	v_mul_f64 v[6:7], v[117:118], v[6:7]
	v_mul_f64 v[4:5], v[13:14], v[4:5]
	s_waitcnt vmcnt(2)
	v_fma_f64 v[0:1], v[17:18], v[6:7], v[0:1]
	buffer_load_dword v6, off, s[24:27], 0 offset:1380 ; 4-byte Folded Reload
	buffer_load_dword v7, off, s[24:27], 0 offset:1384 ; 4-byte Folded Reload
	buffer_load_dword v8, off, s[24:27], 0 offset:1388 ; 4-byte Folded Reload
	buffer_load_dword v9, off, s[24:27], 0 offset:1392 ; 4-byte Folded Reload
	buffer_load_dword v17, off, s[24:27], 0 offset:1364 ; 4-byte Folded Reload
	buffer_load_dword v18, off, s[24:27], 0 offset:1368 ; 4-byte Folded Reload
	buffer_load_dword v19, off, s[24:27], 0 offset:1372 ; 4-byte Folded Reload
	buffer_load_dword v20, off, s[24:27], 0 offset:1376 ; 4-byte Folded Reload
	s_waitcnt vmcnt(6)
	v_fma_f64 v[0:1], v[4:5], v[6:7], v[0:1]
	v_mul_f64 v[4:5], v[25:26], v[2:3]
	v_mul_f64 v[4:5], v[183:184], v[4:5]
	v_mul_f64 v[6:7], v[195:196], v[4:5]
	v_mul_f64 v[6:7], v[191:192], v[6:7]
	s_waitcnt vmcnt(2)
	v_fma_f64 v[0:1], v[6:7], v[17:18], v[0:1]
	buffer_load_dword v17, off, s[24:27], 0 offset:1396 ; 4-byte Folded Reload
	buffer_load_dword v18, off, s[24:27], 0 offset:1400 ; 4-byte Folded Reload
	buffer_load_dword v19, off, s[24:27], 0 offset:1404 ; 4-byte Folded Reload
	buffer_load_dword v20, off, s[24:27], 0 offset:1408 ; 4-byte Folded Reload
	v_mul_f64 v[6:7], v[187:188], v[4:5]
	v_mul_f64 v[6:7], v[183:184], v[6:7]
	s_waitcnt vmcnt(2)
	v_fma_f64 v[0:1], v[6:7], v[17:18], v[0:1]
	buffer_load_dword v17, off, s[24:27], 0 offset:1412 ; 4-byte Folded Reload
	buffer_load_dword v18, off, s[24:27], 0 offset:1416 ; 4-byte Folded Reload
	buffer_load_dword v19, off, s[24:27], 0 offset:1420 ; 4-byte Folded Reload
	buffer_load_dword v20, off, s[24:27], 0 offset:1424 ; 4-byte Folded Reload
	v_mul_f64 v[6:7], v[179:180], v[4:5]
	v_mul_f64 v[6:7], v[175:176], v[6:7]
	s_waitcnt vmcnt(2)
	v_fma_f64 v[0:1], v[6:7], v[17:18], v[0:1]
	buffer_load_dword v17, off, s[24:27], 0 offset:1428 ; 4-byte Folded Reload
	buffer_load_dword v18, off, s[24:27], 0 offset:1432 ; 4-byte Folded Reload
	buffer_load_dword v19, off, s[24:27], 0 offset:1436 ; 4-byte Folded Reload
	buffer_load_dword v20, off, s[24:27], 0 offset:1440 ; 4-byte Folded Reload
	v_mul_f64 v[6:7], v[171:172], v[4:5]
	v_mul_f64 v[4:5], v[11:12], v[4:5]
	v_mul_f64 v[6:7], v[117:118], v[6:7]
	v_mul_f64 v[4:5], v[13:14], v[4:5]
	s_waitcnt vmcnt(2)
	v_fma_f64 v[0:1], v[6:7], v[17:18], v[0:1]
	buffer_load_dword v6, off, s[24:27], 0 offset:1460 ; 4-byte Folded Reload
	buffer_load_dword v7, off, s[24:27], 0 offset:1464 ; 4-byte Folded Reload
	buffer_load_dword v8, off, s[24:27], 0 offset:1468 ; 4-byte Folded Reload
	buffer_load_dword v9, off, s[24:27], 0 offset:1472 ; 4-byte Folded Reload
	buffer_load_dword v17, off, s[24:27], 0 offset:1444 ; 4-byte Folded Reload
	buffer_load_dword v18, off, s[24:27], 0 offset:1448 ; 4-byte Folded Reload
	buffer_load_dword v19, off, s[24:27], 0 offset:1452 ; 4-byte Folded Reload
	buffer_load_dword v20, off, s[24:27], 0 offset:1456 ; 4-byte Folded Reload
	s_waitcnt vmcnt(6)
	v_fma_f64 v[0:1], v[4:5], v[6:7], v[0:1]
	v_mul_f64 v[4:5], v[21:22], v[2:3]
	v_mul_f64 v[4:5], v[175:176], v[4:5]
	;; [unrolled: 42-line block ×3, first 2 shown]
	v_mul_f64 v[4:5], v[117:118], v[4:5]
	v_mul_f64 v[2:3], v[13:14], v[2:3]
	;; [unrolled: 1-line block ×4, first 2 shown]
	s_waitcnt vmcnt(2)
	v_fma_f64 v[0:1], v[6:7], v[17:18], v[0:1]
	buffer_load_dword v17, off, s[24:27], 0 offset:1556 ; 4-byte Folded Reload
	buffer_load_dword v18, off, s[24:27], 0 offset:1560 ; 4-byte Folded Reload
	buffer_load_dword v19, off, s[24:27], 0 offset:1564 ; 4-byte Folded Reload
	buffer_load_dword v20, off, s[24:27], 0 offset:1568 ; 4-byte Folded Reload
	v_mul_f64 v[6:7], v[187:188], v[4:5]
	v_mul_f64 v[6:7], v[183:184], v[6:7]
	s_waitcnt vmcnt(2)
	v_fma_f64 v[0:1], v[6:7], v[17:18], v[0:1]
	buffer_load_dword v17, off, s[24:27], 0 offset:1572 ; 4-byte Folded Reload
	buffer_load_dword v18, off, s[24:27], 0 offset:1576 ; 4-byte Folded Reload
	buffer_load_dword v19, off, s[24:27], 0 offset:1580 ; 4-byte Folded Reload
	buffer_load_dword v20, off, s[24:27], 0 offset:1584 ; 4-byte Folded Reload
	v_mul_f64 v[6:7], v[179:180], v[4:5]
	v_mul_f64 v[6:7], v[175:176], v[6:7]
	s_waitcnt vmcnt(2)
	v_fma_f64 v[0:1], v[6:7], v[17:18], v[0:1]
	buffer_load_dword v17, off, s[24:27], 0 offset:1588 ; 4-byte Folded Reload
	buffer_load_dword v18, off, s[24:27], 0 offset:1592 ; 4-byte Folded Reload
	buffer_load_dword v19, off, s[24:27], 0 offset:1596 ; 4-byte Folded Reload
	buffer_load_dword v20, off, s[24:27], 0 offset:1600 ; 4-byte Folded Reload
	v_mul_f64 v[6:7], v[171:172], v[4:5]
	v_mul_f64 v[4:5], v[11:12], v[4:5]
	v_mul_f64 v[6:7], v[117:118], v[6:7]
	v_mul_f64 v[4:5], v[13:14], v[4:5]
	s_waitcnt vmcnt(2)
	v_fma_f64 v[0:1], v[6:7], v[17:18], v[0:1]
	buffer_load_dword v6, off, s[24:27], 0 offset:1620 ; 4-byte Folded Reload
	buffer_load_dword v7, off, s[24:27], 0 offset:1624 ; 4-byte Folded Reload
	;; [unrolled: 1-line block ×4, first 2 shown]
	s_waitcnt vmcnt(2)
	v_fma_f64 v[0:1], v[4:5], v[6:7], v[0:1]
	buffer_load_dword v6, off, s[24:27], 0 offset:1604 ; 4-byte Folded Reload
	buffer_load_dword v7, off, s[24:27], 0 offset:1608 ; 4-byte Folded Reload
	buffer_load_dword v8, off, s[24:27], 0 offset:1612 ; 4-byte Folded Reload
	buffer_load_dword v9, off, s[24:27], 0 offset:1616 ; 4-byte Folded Reload
	v_mul_f64 v[4:5], v[195:196], v[2:3]
	v_mul_f64 v[4:5], v[191:192], v[4:5]
	s_waitcnt vmcnt(2)
	v_fma_f64 v[0:1], v[4:5], v[6:7], v[0:1]
	buffer_load_dword v6, off, s[24:27], 0 offset:1636 ; 4-byte Folded Reload
	buffer_load_dword v7, off, s[24:27], 0 offset:1640 ; 4-byte Folded Reload
	buffer_load_dword v8, off, s[24:27], 0 offset:1644 ; 4-byte Folded Reload
	buffer_load_dword v9, off, s[24:27], 0 offset:1648 ; 4-byte Folded Reload
	v_mul_f64 v[4:5], v[187:188], v[2:3]
	v_mul_f64 v[4:5], v[183:184], v[4:5]
	;; [unrolled: 8-line block ×4, first 2 shown]
	v_mul_f64 v[4:5], v[117:118], v[4:5]
	v_mul_f64 v[2:3], v[13:14], v[2:3]
	s_waitcnt vmcnt(2)
	v_fma_f64 v[0:1], v[4:5], v[6:7], v[0:1]
	buffer_load_dword v4, off, s[24:27], 0 offset:1684 ; 4-byte Folded Reload
	buffer_load_dword v5, off, s[24:27], 0 offset:1688 ; 4-byte Folded Reload
	;; [unrolled: 1-line block ×4, first 2 shown]
	s_waitcnt vmcnt(2)
	v_fma_f64 v[17:18], v[2:3], v[4:5], v[0:1]
	buffer_load_dword v0, off, s[24:27], 0 offset:1284 ; 4-byte Folded Reload
	buffer_load_dword v1, off, s[24:27], 0 offset:1288 ; 4-byte Folded Reload
	;; [unrolled: 1-line block ×12, first 2 shown]
	s_waitcnt vmcnt(6)
	v_mul_f64 v[0:1], v[0:1], v[2:3]
	v_mul_f64 v[2:3], v[23:24], v[0:1]
	v_mul_f64 v[2:3], v[191:192], v[2:3]
	s_waitcnt vmcnt(4)
	v_mul_f64 v[4:5], v[195:196], v[2:3]
	v_mul_f64 v[4:5], v[191:192], v[4:5]
	s_waitcnt vmcnt(2)
	v_fma_f64 v[4:5], v[6:7], v[4:5], v[17:18]
	buffer_load_dword v17, off, s[24:27], 0 offset:1204 ; 4-byte Folded Reload
	buffer_load_dword v18, off, s[24:27], 0 offset:1208 ; 4-byte Folded Reload
	buffer_load_dword v19, off, s[24:27], 0 offset:1212 ; 4-byte Folded Reload
	buffer_load_dword v20, off, s[24:27], 0 offset:1216 ; 4-byte Folded Reload
	v_mul_f64 v[6:7], v[187:188], v[2:3]
	v_mul_f64 v[6:7], v[183:184], v[6:7]
	s_waitcnt vmcnt(2)
	v_fma_f64 v[4:5], v[17:18], v[6:7], v[4:5]
	buffer_load_dword v17, off, s[24:27], 0 offset:1188 ; 4-byte Folded Reload
	buffer_load_dword v18, off, s[24:27], 0 offset:1192 ; 4-byte Folded Reload
	buffer_load_dword v19, off, s[24:27], 0 offset:1196 ; 4-byte Folded Reload
	buffer_load_dword v20, off, s[24:27], 0 offset:1200 ; 4-byte Folded Reload
	v_mul_f64 v[6:7], v[179:180], v[2:3]
	v_mul_f64 v[6:7], v[175:176], v[6:7]
	s_waitcnt vmcnt(2)
	v_fma_f64 v[4:5], v[17:18], v[6:7], v[4:5]
	buffer_load_dword v17, off, s[24:27], 0 offset:1172 ; 4-byte Folded Reload
	buffer_load_dword v18, off, s[24:27], 0 offset:1176 ; 4-byte Folded Reload
	buffer_load_dword v19, off, s[24:27], 0 offset:1180 ; 4-byte Folded Reload
	buffer_load_dword v20, off, s[24:27], 0 offset:1184 ; 4-byte Folded Reload
	v_mul_f64 v[6:7], v[171:172], v[2:3]
	v_mul_f64 v[2:3], v[11:12], v[2:3]
	v_mul_f64 v[6:7], v[117:118], v[6:7]
	v_mul_f64 v[2:3], v[13:14], v[2:3]
	s_waitcnt vmcnt(2)
	v_fma_f64 v[4:5], v[17:18], v[6:7], v[4:5]
	buffer_load_dword v6, off, s[24:27], 0 offset:1156 ; 4-byte Folded Reload
	buffer_load_dword v7, off, s[24:27], 0 offset:1160 ; 4-byte Folded Reload
	buffer_load_dword v8, off, s[24:27], 0 offset:1164 ; 4-byte Folded Reload
	buffer_load_dword v9, off, s[24:27], 0 offset:1168 ; 4-byte Folded Reload
	buffer_load_dword v17, off, s[24:27], 0 offset:1140 ; 4-byte Folded Reload
	buffer_load_dword v18, off, s[24:27], 0 offset:1144 ; 4-byte Folded Reload
	buffer_load_dword v19, off, s[24:27], 0 offset:1148 ; 4-byte Folded Reload
	buffer_load_dword v20, off, s[24:27], 0 offset:1152 ; 4-byte Folded Reload
	s_waitcnt vmcnt(6)
	v_fma_f64 v[2:3], v[2:3], v[6:7], v[4:5]
	v_mul_f64 v[4:5], v[25:26], v[0:1]
	v_mul_f64 v[4:5], v[183:184], v[4:5]
	v_mul_f64 v[6:7], v[195:196], v[4:5]
	v_mul_f64 v[6:7], v[191:192], v[6:7]
	s_waitcnt vmcnt(2)
	v_fma_f64 v[2:3], v[6:7], v[17:18], v[2:3]
	buffer_load_dword v17, off, s[24:27], 0 offset:1124 ; 4-byte Folded Reload
	buffer_load_dword v18, off, s[24:27], 0 offset:1128 ; 4-byte Folded Reload
	buffer_load_dword v19, off, s[24:27], 0 offset:1132 ; 4-byte Folded Reload
	buffer_load_dword v20, off, s[24:27], 0 offset:1136 ; 4-byte Folded Reload
	v_mul_f64 v[6:7], v[187:188], v[4:5]
	v_mul_f64 v[6:7], v[183:184], v[6:7]
	s_waitcnt vmcnt(2)
	v_fma_f64 v[2:3], v[6:7], v[17:18], v[2:3]
	buffer_load_dword v17, off, s[24:27], 0 offset:1108 ; 4-byte Folded Reload
	buffer_load_dword v18, off, s[24:27], 0 offset:1112 ; 4-byte Folded Reload
	buffer_load_dword v19, off, s[24:27], 0 offset:1116 ; 4-byte Folded Reload
	buffer_load_dword v20, off, s[24:27], 0 offset:1120 ; 4-byte Folded Reload
	v_mul_f64 v[6:7], v[179:180], v[4:5]
	v_mul_f64 v[6:7], v[175:176], v[6:7]
	s_waitcnt vmcnt(2)
	v_fma_f64 v[2:3], v[6:7], v[17:18], v[2:3]
	buffer_load_dword v17, off, s[24:27], 0 offset:1092 ; 4-byte Folded Reload
	buffer_load_dword v18, off, s[24:27], 0 offset:1096 ; 4-byte Folded Reload
	buffer_load_dword v19, off, s[24:27], 0 offset:1100 ; 4-byte Folded Reload
	buffer_load_dword v20, off, s[24:27], 0 offset:1104 ; 4-byte Folded Reload
	v_mul_f64 v[6:7], v[171:172], v[4:5]
	v_mul_f64 v[4:5], v[11:12], v[4:5]
	v_mul_f64 v[6:7], v[117:118], v[6:7]
	v_mul_f64 v[4:5], v[13:14], v[4:5]
	s_waitcnt vmcnt(2)
	v_fma_f64 v[2:3], v[6:7], v[17:18], v[2:3]
	buffer_load_dword v6, off, s[24:27], 0 offset:1076 ; 4-byte Folded Reload
	buffer_load_dword v7, off, s[24:27], 0 offset:1080 ; 4-byte Folded Reload
	buffer_load_dword v8, off, s[24:27], 0 offset:1084 ; 4-byte Folded Reload
	buffer_load_dword v9, off, s[24:27], 0 offset:1088 ; 4-byte Folded Reload
	buffer_load_dword v17, off, s[24:27], 0 offset:1060 ; 4-byte Folded Reload
	buffer_load_dword v18, off, s[24:27], 0 offset:1064 ; 4-byte Folded Reload
	buffer_load_dword v19, off, s[24:27], 0 offset:1068 ; 4-byte Folded Reload
	buffer_load_dword v20, off, s[24:27], 0 offset:1072 ; 4-byte Folded Reload
	s_waitcnt vmcnt(6)
	v_fma_f64 v[2:3], v[4:5], v[6:7], v[2:3]
	v_mul_f64 v[4:5], v[21:22], v[0:1]
	v_mul_f64 v[4:5], v[175:176], v[4:5]
	;; [unrolled: 42-line block ×3, first 2 shown]
	v_mul_f64 v[4:5], v[117:118], v[4:5]
	v_mul_f64 v[0:1], v[13:14], v[0:1]
	;; [unrolled: 1-line block ×4, first 2 shown]
	s_waitcnt vmcnt(2)
	v_fma_f64 v[2:3], v[6:7], v[17:18], v[2:3]
	buffer_load_dword v17, off, s[24:27], 0 offset:948 ; 4-byte Folded Reload
	buffer_load_dword v18, off, s[24:27], 0 offset:952 ; 4-byte Folded Reload
	buffer_load_dword v19, off, s[24:27], 0 offset:956 ; 4-byte Folded Reload
	buffer_load_dword v20, off, s[24:27], 0 offset:960 ; 4-byte Folded Reload
	v_mul_f64 v[6:7], v[187:188], v[4:5]
	v_mul_f64 v[6:7], v[183:184], v[6:7]
	s_waitcnt vmcnt(2)
	v_fma_f64 v[2:3], v[6:7], v[17:18], v[2:3]
	buffer_load_dword v17, off, s[24:27], 0 offset:932 ; 4-byte Folded Reload
	buffer_load_dword v18, off, s[24:27], 0 offset:936 ; 4-byte Folded Reload
	buffer_load_dword v19, off, s[24:27], 0 offset:940 ; 4-byte Folded Reload
	buffer_load_dword v20, off, s[24:27], 0 offset:944 ; 4-byte Folded Reload
	v_mul_f64 v[6:7], v[179:180], v[4:5]
	v_mul_f64 v[6:7], v[175:176], v[6:7]
	s_waitcnt vmcnt(2)
	v_fma_f64 v[2:3], v[6:7], v[17:18], v[2:3]
	buffer_load_dword v17, off, s[24:27], 0 offset:916 ; 4-byte Folded Reload
	buffer_load_dword v18, off, s[24:27], 0 offset:920 ; 4-byte Folded Reload
	buffer_load_dword v19, off, s[24:27], 0 offset:924 ; 4-byte Folded Reload
	buffer_load_dword v20, off, s[24:27], 0 offset:928 ; 4-byte Folded Reload
	v_mul_f64 v[6:7], v[171:172], v[4:5]
	v_mul_f64 v[4:5], v[11:12], v[4:5]
	v_mul_f64 v[6:7], v[117:118], v[6:7]
	v_mul_f64 v[4:5], v[13:14], v[4:5]
	s_waitcnt vmcnt(2)
	v_fma_f64 v[2:3], v[6:7], v[17:18], v[2:3]
	buffer_load_dword v6, off, s[24:27], 0 offset:900 ; 4-byte Folded Reload
	buffer_load_dword v7, off, s[24:27], 0 offset:904 ; 4-byte Folded Reload
	;; [unrolled: 1-line block ×4, first 2 shown]
	s_waitcnt vmcnt(2)
	v_fma_f64 v[2:3], v[4:5], v[6:7], v[2:3]
	buffer_load_dword v6, off, s[24:27], 0 offset:884 ; 4-byte Folded Reload
	buffer_load_dword v7, off, s[24:27], 0 offset:888 ; 4-byte Folded Reload
	buffer_load_dword v8, off, s[24:27], 0 offset:892 ; 4-byte Folded Reload
	buffer_load_dword v9, off, s[24:27], 0 offset:896 ; 4-byte Folded Reload
	v_mul_f64 v[4:5], v[195:196], v[0:1]
	v_mul_f64 v[4:5], v[191:192], v[4:5]
	s_waitcnt vmcnt(2)
	v_fma_f64 v[2:3], v[4:5], v[6:7], v[2:3]
	buffer_load_dword v6, off, s[24:27], 0 offset:868 ; 4-byte Folded Reload
	buffer_load_dword v7, off, s[24:27], 0 offset:872 ; 4-byte Folded Reload
	buffer_load_dword v8, off, s[24:27], 0 offset:876 ; 4-byte Folded Reload
	buffer_load_dword v9, off, s[24:27], 0 offset:880 ; 4-byte Folded Reload
	v_mul_f64 v[4:5], v[187:188], v[0:1]
	v_mul_f64 v[4:5], v[183:184], v[4:5]
	;; [unrolled: 8-line block ×4, first 2 shown]
	v_mul_f64 v[4:5], v[117:118], v[4:5]
	v_mul_f64 v[0:1], v[13:14], v[0:1]
	s_waitcnt vmcnt(2)
	v_fma_f64 v[2:3], v[4:5], v[6:7], v[2:3]
	buffer_load_dword v4, off, s[24:27], 0 offset:820 ; 4-byte Folded Reload
	buffer_load_dword v5, off, s[24:27], 0 offset:824 ; 4-byte Folded Reload
	;; [unrolled: 1-line block ×4, first 2 shown]
	s_waitcnt vmcnt(2)
	v_fma_f64 v[0:1], v[0:1], v[4:5], v[2:3]
	ds_read_b64 v[2:3], v36 offset:128
	ds_read_b64 v[4:5], v136 offset:128
	buffer_load_dword v17, off, s[24:27], 0 offset:804 ; 4-byte Folded Reload
	buffer_load_dword v18, off, s[24:27], 0 offset:808 ; 4-byte Folded Reload
	;; [unrolled: 1-line block ×4, first 2 shown]
	s_waitcnt lgkmcnt(0)
	v_mul_f64 v[2:3], v[2:3], v[4:5]
	v_mul_f64 v[4:5], v[23:24], v[2:3]
	;; [unrolled: 1-line block ×3, first 2 shown]
	s_waitcnt vmcnt(4)
	v_mul_f64 v[6:7], v[195:196], v[4:5]
	v_mul_f64 v[6:7], v[191:192], v[6:7]
	s_waitcnt vmcnt(2)
	v_fma_f64 v[0:1], v[17:18], v[6:7], v[0:1]
	buffer_load_dword v17, off, s[24:27], 0 offset:788 ; 4-byte Folded Reload
	buffer_load_dword v18, off, s[24:27], 0 offset:792 ; 4-byte Folded Reload
	buffer_load_dword v19, off, s[24:27], 0 offset:796 ; 4-byte Folded Reload
	buffer_load_dword v20, off, s[24:27], 0 offset:800 ; 4-byte Folded Reload
	v_mul_f64 v[6:7], v[187:188], v[4:5]
	v_mul_f64 v[6:7], v[183:184], v[6:7]
	s_waitcnt vmcnt(2)
	v_fma_f64 v[0:1], v[17:18], v[6:7], v[0:1]
	buffer_load_dword v17, off, s[24:27], 0 offset:772 ; 4-byte Folded Reload
	buffer_load_dword v18, off, s[24:27], 0 offset:776 ; 4-byte Folded Reload
	buffer_load_dword v19, off, s[24:27], 0 offset:780 ; 4-byte Folded Reload
	buffer_load_dword v20, off, s[24:27], 0 offset:784 ; 4-byte Folded Reload
	;; [unrolled: 8-line block ×3, first 2 shown]
	v_mul_f64 v[6:7], v[171:172], v[4:5]
	v_mul_f64 v[4:5], v[11:12], v[4:5]
	;; [unrolled: 1-line block ×4, first 2 shown]
	s_waitcnt vmcnt(2)
	v_fma_f64 v[0:1], v[17:18], v[6:7], v[0:1]
	buffer_load_dword v6, off, s[24:27], 0 offset:740 ; 4-byte Folded Reload
	buffer_load_dword v7, off, s[24:27], 0 offset:744 ; 4-byte Folded Reload
	;; [unrolled: 1-line block ×8, first 2 shown]
	s_waitcnt vmcnt(6)
	v_fma_f64 v[0:1], v[4:5], v[6:7], v[0:1]
	v_mul_f64 v[4:5], v[25:26], v[2:3]
	v_mul_f64 v[4:5], v[183:184], v[4:5]
	;; [unrolled: 1-line block ×4, first 2 shown]
	s_waitcnt vmcnt(2)
	v_fma_f64 v[0:1], v[6:7], v[17:18], v[0:1]
	buffer_load_dword v17, off, s[24:27], 0 offset:708 ; 4-byte Folded Reload
	buffer_load_dword v18, off, s[24:27], 0 offset:712 ; 4-byte Folded Reload
	buffer_load_dword v19, off, s[24:27], 0 offset:716 ; 4-byte Folded Reload
	buffer_load_dword v20, off, s[24:27], 0 offset:720 ; 4-byte Folded Reload
	v_mul_f64 v[6:7], v[187:188], v[4:5]
	v_mul_f64 v[6:7], v[183:184], v[6:7]
	s_waitcnt vmcnt(2)
	v_fma_f64 v[0:1], v[6:7], v[17:18], v[0:1]
	buffer_load_dword v17, off, s[24:27], 0 offset:692 ; 4-byte Folded Reload
	buffer_load_dword v18, off, s[24:27], 0 offset:696 ; 4-byte Folded Reload
	buffer_load_dword v19, off, s[24:27], 0 offset:700 ; 4-byte Folded Reload
	buffer_load_dword v20, off, s[24:27], 0 offset:704 ; 4-byte Folded Reload
	v_mul_f64 v[6:7], v[179:180], v[4:5]
	v_mul_f64 v[6:7], v[175:176], v[6:7]
	;; [unrolled: 8-line block ×3, first 2 shown]
	v_mul_f64 v[6:7], v[117:118], v[6:7]
	v_mul_f64 v[4:5], v[13:14], v[4:5]
	s_waitcnt vmcnt(2)
	v_fma_f64 v[0:1], v[6:7], v[17:18], v[0:1]
	buffer_load_dword v6, off, s[24:27], 0 offset:660 ; 4-byte Folded Reload
	buffer_load_dword v7, off, s[24:27], 0 offset:664 ; 4-byte Folded Reload
	;; [unrolled: 1-line block ×8, first 2 shown]
	s_waitcnt vmcnt(6)
	v_fma_f64 v[0:1], v[4:5], v[6:7], v[0:1]
	v_mul_f64 v[4:5], v[21:22], v[2:3]
	v_mul_f64 v[4:5], v[175:176], v[4:5]
	;; [unrolled: 1-line block ×4, first 2 shown]
	s_waitcnt vmcnt(2)
	v_fma_f64 v[0:1], v[6:7], v[17:18], v[0:1]
	buffer_load_dword v17, off, s[24:27], 0 offset:628 ; 4-byte Folded Reload
	buffer_load_dword v18, off, s[24:27], 0 offset:632 ; 4-byte Folded Reload
	buffer_load_dword v19, off, s[24:27], 0 offset:636 ; 4-byte Folded Reload
	buffer_load_dword v20, off, s[24:27], 0 offset:640 ; 4-byte Folded Reload
	v_mul_f64 v[6:7], v[187:188], v[4:5]
	v_mul_f64 v[6:7], v[183:184], v[6:7]
	s_waitcnt vmcnt(2)
	v_fma_f64 v[0:1], v[6:7], v[17:18], v[0:1]
	buffer_load_dword v17, off, s[24:27], 0 offset:612 ; 4-byte Folded Reload
	buffer_load_dword v18, off, s[24:27], 0 offset:616 ; 4-byte Folded Reload
	buffer_load_dword v19, off, s[24:27], 0 offset:620 ; 4-byte Folded Reload
	buffer_load_dword v20, off, s[24:27], 0 offset:624 ; 4-byte Folded Reload
	v_mul_f64 v[6:7], v[179:180], v[4:5]
	v_mul_f64 v[6:7], v[175:176], v[6:7]
	;; [unrolled: 8-line block ×3, first 2 shown]
	v_mul_f64 v[6:7], v[117:118], v[6:7]
	v_mul_f64 v[4:5], v[13:14], v[4:5]
	v_fma_f64 v[0:1], v[6:7], v[231:232], v[0:1]
	v_fma_f64 v[0:1], v[4:5], v[225:226], v[0:1]
	v_mul_f64 v[4:5], v[27:28], v[2:3]
	v_mul_f64 v[2:3], v[15:16], v[2:3]
	;; [unrolled: 1-line block ×6, first 2 shown]
	v_fma_f64 v[0:1], v[6:7], v[205:206], v[0:1]
	v_mul_f64 v[6:7], v[187:188], v[4:5]
	v_mul_f64 v[6:7], v[183:184], v[6:7]
	s_waitcnt vmcnt(2)
	v_fma_f64 v[0:1], v[6:7], v[17:18], v[0:1]
	buffer_load_dword v17, off, s[24:27], 0 offset:1268 ; 4-byte Folded Reload
	buffer_load_dword v18, off, s[24:27], 0 offset:1272 ; 4-byte Folded Reload
	;; [unrolled: 1-line block ×4, first 2 shown]
	v_mul_f64 v[6:7], v[179:180], v[4:5]
	v_mul_f64 v[6:7], v[175:176], v[6:7]
	s_waitcnt vmcnt(2)
	v_fma_f64 v[0:1], v[6:7], v[17:18], v[0:1]
	buffer_load_dword v17, off, s[24:27], 0 offset:1252 ; 4-byte Folded Reload
	buffer_load_dword v18, off, s[24:27], 0 offset:1256 ; 4-byte Folded Reload
	;; [unrolled: 1-line block ×4, first 2 shown]
	v_mul_f64 v[6:7], v[171:172], v[4:5]
	v_mul_f64 v[4:5], v[11:12], v[4:5]
	;; [unrolled: 1-line block ×4, first 2 shown]
	s_waitcnt vmcnt(2)
	v_fma_f64 v[0:1], v[6:7], v[17:18], v[0:1]
	buffer_load_dword v6, off, s[24:27], 0 offset:1236 ; 4-byte Folded Reload
	buffer_load_dword v7, off, s[24:27], 0 offset:1240 ; 4-byte Folded Reload
	;; [unrolled: 1-line block ×4, first 2 shown]
	s_waitcnt vmcnt(2)
	v_fma_f64 v[0:1], v[4:5], v[6:7], v[0:1]
	buffer_load_dword v6, off, s[24:27], 0 offset:1028 ; 4-byte Folded Reload
	buffer_load_dword v7, off, s[24:27], 0 offset:1032 ; 4-byte Folded Reload
	buffer_load_dword v8, off, s[24:27], 0 offset:1036 ; 4-byte Folded Reload
	buffer_load_dword v9, off, s[24:27], 0 offset:1040 ; 4-byte Folded Reload
	v_mul_f64 v[4:5], v[195:196], v[2:3]
	v_mul_f64 v[4:5], v[191:192], v[4:5]
	s_waitcnt vmcnt(2)
	v_fma_f64 v[0:1], v[4:5], v[6:7], v[0:1]
	buffer_load_dword v6, off, s[24:27], 0 offset:2844 ; 4-byte Folded Reload
	buffer_load_dword v7, off, s[24:27], 0 offset:2848 ; 4-byte Folded Reload
	buffer_load_dword v8, off, s[24:27], 0 offset:2852 ; 4-byte Folded Reload
	buffer_load_dword v9, off, s[24:27], 0 offset:2856 ; 4-byte Folded Reload
	v_mul_f64 v[4:5], v[187:188], v[2:3]
	v_mul_f64 v[4:5], v[183:184], v[4:5]
	;; [unrolled: 8-line block ×3, first 2 shown]
	v_fma_f64 v[0:1], v[4:5], v[165:166], v[0:1]
	v_mul_f64 v[4:5], v[171:172], v[2:3]
	v_mul_f64 v[2:3], v[11:12], v[2:3]
	v_mul_f64 v[4:5], v[117:118], v[4:5]
	v_mul_f64 v[2:3], v[13:14], v[2:3]
	s_waitcnt vmcnt(2)
	v_fma_f64 v[0:1], v[4:5], v[6:7], v[0:1]
	v_fma_f64 v[11:12], v[2:3], v[167:168], v[0:1]
	global_store_dwordx2 v[134:135], v[11:12], off offset:2048
	s_cbranch_scc1 .LBB1_24
.LBB1_25:
	s_endpgm
	.section	.rodata,"a",@progbits
	.p2align	6, 0x0
	.amdhsa_kernel _ZN4RAJA34launch_new_reduce_global_fcn_fixedIZN8rajaperf4apps8MASS3DEA17runHipVariantImplILm64ELm0EEEvNS1_9VariantIDEEUlNS_14LaunchContextTINS_3hip33LaunchContextIndicesAndDimsPolicyINS7_14IndicesAndDimsILb0ELb0ELb0ELb0EEEEEEEE_Li64ENS_4expt15ForallParamPackIJEEEEEvT_T1_
		.amdhsa_group_segment_fixed_size 1168
		.amdhsa_private_segment_fixed_size 5140
		.amdhsa_kernarg_size 36
		.amdhsa_user_sgpr_count 6
		.amdhsa_user_sgpr_private_segment_buffer 1
		.amdhsa_user_sgpr_dispatch_ptr 0
		.amdhsa_user_sgpr_queue_ptr 0
		.amdhsa_user_sgpr_kernarg_segment_ptr 1
		.amdhsa_user_sgpr_dispatch_id 0
		.amdhsa_user_sgpr_flat_scratch_init 0
		.amdhsa_user_sgpr_private_segment_size 0
		.amdhsa_uses_dynamic_stack 0
		.amdhsa_system_sgpr_private_segment_wavefront_offset 1
		.amdhsa_system_sgpr_workgroup_id_x 1
		.amdhsa_system_sgpr_workgroup_id_y 0
		.amdhsa_system_sgpr_workgroup_id_z 0
		.amdhsa_system_sgpr_workgroup_info 0
		.amdhsa_system_vgpr_workitem_id 2
		.amdhsa_next_free_vgpr 256
		.amdhsa_next_free_sgpr 28
		.amdhsa_reserve_vcc 1
		.amdhsa_reserve_flat_scratch 0
		.amdhsa_float_round_mode_32 0
		.amdhsa_float_round_mode_16_64 0
		.amdhsa_float_denorm_mode_32 3
		.amdhsa_float_denorm_mode_16_64 3
		.amdhsa_dx10_clamp 1
		.amdhsa_ieee_mode 1
		.amdhsa_fp16_overflow 0
		.amdhsa_exception_fp_ieee_invalid_op 0
		.amdhsa_exception_fp_denorm_src 0
		.amdhsa_exception_fp_ieee_div_zero 0
		.amdhsa_exception_fp_ieee_overflow 0
		.amdhsa_exception_fp_ieee_underflow 0
		.amdhsa_exception_fp_ieee_inexact 0
		.amdhsa_exception_int_div_zero 0
	.end_amdhsa_kernel
	.section	.text._ZN4RAJA34launch_new_reduce_global_fcn_fixedIZN8rajaperf4apps8MASS3DEA17runHipVariantImplILm64ELm0EEEvNS1_9VariantIDEEUlNS_14LaunchContextTINS_3hip33LaunchContextIndicesAndDimsPolicyINS7_14IndicesAndDimsILb0ELb0ELb0ELb0EEEEEEEE_Li64ENS_4expt15ForallParamPackIJEEEEEvT_T1_,"axG",@progbits,_ZN4RAJA34launch_new_reduce_global_fcn_fixedIZN8rajaperf4apps8MASS3DEA17runHipVariantImplILm64ELm0EEEvNS1_9VariantIDEEUlNS_14LaunchContextTINS_3hip33LaunchContextIndicesAndDimsPolicyINS7_14IndicesAndDimsILb0ELb0ELb0ELb0EEEEEEEE_Li64ENS_4expt15ForallParamPackIJEEEEEvT_T1_,comdat
.Lfunc_end1:
	.size	_ZN4RAJA34launch_new_reduce_global_fcn_fixedIZN8rajaperf4apps8MASS3DEA17runHipVariantImplILm64ELm0EEEvNS1_9VariantIDEEUlNS_14LaunchContextTINS_3hip33LaunchContextIndicesAndDimsPolicyINS7_14IndicesAndDimsILb0ELb0ELb0ELb0EEEEEEEE_Li64ENS_4expt15ForallParamPackIJEEEEEvT_T1_, .Lfunc_end1-_ZN4RAJA34launch_new_reduce_global_fcn_fixedIZN8rajaperf4apps8MASS3DEA17runHipVariantImplILm64ELm0EEEvNS1_9VariantIDEEUlNS_14LaunchContextTINS_3hip33LaunchContextIndicesAndDimsPolicyINS7_14IndicesAndDimsILb0ELb0ELb0ELb0EEEEEEEE_Li64ENS_4expt15ForallParamPackIJEEEEEvT_T1_
                                        ; -- End function
	.set _ZN4RAJA34launch_new_reduce_global_fcn_fixedIZN8rajaperf4apps8MASS3DEA17runHipVariantImplILm64ELm0EEEvNS1_9VariantIDEEUlNS_14LaunchContextTINS_3hip33LaunchContextIndicesAndDimsPolicyINS7_14IndicesAndDimsILb0ELb0ELb0ELb0EEEEEEEE_Li64ENS_4expt15ForallParamPackIJEEEEEvT_T1_.num_vgpr, 256
	.set _ZN4RAJA34launch_new_reduce_global_fcn_fixedIZN8rajaperf4apps8MASS3DEA17runHipVariantImplILm64ELm0EEEvNS1_9VariantIDEEUlNS_14LaunchContextTINS_3hip33LaunchContextIndicesAndDimsPolicyINS7_14IndicesAndDimsILb0ELb0ELb0ELb0EEEEEEEE_Li64ENS_4expt15ForallParamPackIJEEEEEvT_T1_.num_agpr, 0
	.set _ZN4RAJA34launch_new_reduce_global_fcn_fixedIZN8rajaperf4apps8MASS3DEA17runHipVariantImplILm64ELm0EEEvNS1_9VariantIDEEUlNS_14LaunchContextTINS_3hip33LaunchContextIndicesAndDimsPolicyINS7_14IndicesAndDimsILb0ELb0ELb0ELb0EEEEEEEE_Li64ENS_4expt15ForallParamPackIJEEEEEvT_T1_.numbered_sgpr, 28
	.set _ZN4RAJA34launch_new_reduce_global_fcn_fixedIZN8rajaperf4apps8MASS3DEA17runHipVariantImplILm64ELm0EEEvNS1_9VariantIDEEUlNS_14LaunchContextTINS_3hip33LaunchContextIndicesAndDimsPolicyINS7_14IndicesAndDimsILb0ELb0ELb0ELb0EEEEEEEE_Li64ENS_4expt15ForallParamPackIJEEEEEvT_T1_.num_named_barrier, 0
	.set _ZN4RAJA34launch_new_reduce_global_fcn_fixedIZN8rajaperf4apps8MASS3DEA17runHipVariantImplILm64ELm0EEEvNS1_9VariantIDEEUlNS_14LaunchContextTINS_3hip33LaunchContextIndicesAndDimsPolicyINS7_14IndicesAndDimsILb0ELb0ELb0ELb0EEEEEEEE_Li64ENS_4expt15ForallParamPackIJEEEEEvT_T1_.private_seg_size, 5140
	.set _ZN4RAJA34launch_new_reduce_global_fcn_fixedIZN8rajaperf4apps8MASS3DEA17runHipVariantImplILm64ELm0EEEvNS1_9VariantIDEEUlNS_14LaunchContextTINS_3hip33LaunchContextIndicesAndDimsPolicyINS7_14IndicesAndDimsILb0ELb0ELb0ELb0EEEEEEEE_Li64ENS_4expt15ForallParamPackIJEEEEEvT_T1_.uses_vcc, 1
	.set _ZN4RAJA34launch_new_reduce_global_fcn_fixedIZN8rajaperf4apps8MASS3DEA17runHipVariantImplILm64ELm0EEEvNS1_9VariantIDEEUlNS_14LaunchContextTINS_3hip33LaunchContextIndicesAndDimsPolicyINS7_14IndicesAndDimsILb0ELb0ELb0ELb0EEEEEEEE_Li64ENS_4expt15ForallParamPackIJEEEEEvT_T1_.uses_flat_scratch, 0
	.set _ZN4RAJA34launch_new_reduce_global_fcn_fixedIZN8rajaperf4apps8MASS3DEA17runHipVariantImplILm64ELm0EEEvNS1_9VariantIDEEUlNS_14LaunchContextTINS_3hip33LaunchContextIndicesAndDimsPolicyINS7_14IndicesAndDimsILb0ELb0ELb0ELb0EEEEEEEE_Li64ENS_4expt15ForallParamPackIJEEEEEvT_T1_.has_dyn_sized_stack, 0
	.set _ZN4RAJA34launch_new_reduce_global_fcn_fixedIZN8rajaperf4apps8MASS3DEA17runHipVariantImplILm64ELm0EEEvNS1_9VariantIDEEUlNS_14LaunchContextTINS_3hip33LaunchContextIndicesAndDimsPolicyINS7_14IndicesAndDimsILb0ELb0ELb0ELb0EEEEEEEE_Li64ENS_4expt15ForallParamPackIJEEEEEvT_T1_.has_recursion, 0
	.set _ZN4RAJA34launch_new_reduce_global_fcn_fixedIZN8rajaperf4apps8MASS3DEA17runHipVariantImplILm64ELm0EEEvNS1_9VariantIDEEUlNS_14LaunchContextTINS_3hip33LaunchContextIndicesAndDimsPolicyINS7_14IndicesAndDimsILb0ELb0ELb0ELb0EEEEEEEE_Li64ENS_4expt15ForallParamPackIJEEEEEvT_T1_.has_indirect_call, 0
	.section	.AMDGPU.csdata,"",@progbits
; Kernel info:
; codeLenInByte = 108528
; TotalNumSgprs: 32
; NumVgprs: 256
; ScratchSize: 5140
; MemoryBound: 0
; FloatMode: 240
; IeeeMode: 1
; LDSByteSize: 1168 bytes/workgroup (compile time only)
; SGPRBlocks: 3
; VGPRBlocks: 63
; NumSGPRsForWavesPerEU: 32
; NumVGPRsForWavesPerEU: 256
; Occupancy: 1
; WaveLimiterHint : 1
; COMPUTE_PGM_RSRC2:SCRATCH_EN: 1
; COMPUTE_PGM_RSRC2:USER_SGPR: 6
; COMPUTE_PGM_RSRC2:TRAP_HANDLER: 0
; COMPUTE_PGM_RSRC2:TGID_X_EN: 1
; COMPUTE_PGM_RSRC2:TGID_Y_EN: 0
; COMPUTE_PGM_RSRC2:TGID_Z_EN: 0
; COMPUTE_PGM_RSRC2:TIDIG_COMP_CNT: 2
	.section	.text._ZN4RAJA34launch_new_reduce_global_fcn_fixedIZN8rajaperf4apps8MASS3DEA17runHipVariantImplILm64ELm1EEEvNS1_9VariantIDEEUlNS_14LaunchContextTINS_3hip33LaunchContextIndicesAndDimsPolicyINS7_14IndicesAndDimsILb0ELb0ELb1ELb0EEEEEEEE_Li64ENS_4expt15ForallParamPackIJEEEEEvT_T1_,"axG",@progbits,_ZN4RAJA34launch_new_reduce_global_fcn_fixedIZN8rajaperf4apps8MASS3DEA17runHipVariantImplILm64ELm1EEEvNS1_9VariantIDEEUlNS_14LaunchContextTINS_3hip33LaunchContextIndicesAndDimsPolicyINS7_14IndicesAndDimsILb0ELb0ELb1ELb0EEEEEEEE_Li64ENS_4expt15ForallParamPackIJEEEEEvT_T1_,comdat
	.protected	_ZN4RAJA34launch_new_reduce_global_fcn_fixedIZN8rajaperf4apps8MASS3DEA17runHipVariantImplILm64ELm1EEEvNS1_9VariantIDEEUlNS_14LaunchContextTINS_3hip33LaunchContextIndicesAndDimsPolicyINS7_14IndicesAndDimsILb0ELb0ELb1ELb0EEEEEEEE_Li64ENS_4expt15ForallParamPackIJEEEEEvT_T1_ ; -- Begin function _ZN4RAJA34launch_new_reduce_global_fcn_fixedIZN8rajaperf4apps8MASS3DEA17runHipVariantImplILm64ELm1EEEvNS1_9VariantIDEEUlNS_14LaunchContextTINS_3hip33LaunchContextIndicesAndDimsPolicyINS7_14IndicesAndDimsILb0ELb0ELb1ELb0EEEEEEEE_Li64ENS_4expt15ForallParamPackIJEEEEEvT_T1_
	.globl	_ZN4RAJA34launch_new_reduce_global_fcn_fixedIZN8rajaperf4apps8MASS3DEA17runHipVariantImplILm64ELm1EEEvNS1_9VariantIDEEUlNS_14LaunchContextTINS_3hip33LaunchContextIndicesAndDimsPolicyINS7_14IndicesAndDimsILb0ELb0ELb1ELb0EEEEEEEE_Li64ENS_4expt15ForallParamPackIJEEEEEvT_T1_
	.p2align	8
	.type	_ZN4RAJA34launch_new_reduce_global_fcn_fixedIZN8rajaperf4apps8MASS3DEA17runHipVariantImplILm64ELm1EEEvNS1_9VariantIDEEUlNS_14LaunchContextTINS_3hip33LaunchContextIndicesAndDimsPolicyINS7_14IndicesAndDimsILb0ELb0ELb1ELb0EEEEEEEE_Li64ENS_4expt15ForallParamPackIJEEEEEvT_T1_,@function
_ZN4RAJA34launch_new_reduce_global_fcn_fixedIZN8rajaperf4apps8MASS3DEA17runHipVariantImplILm64ELm1EEEvNS1_9VariantIDEEUlNS_14LaunchContextTINS_3hip33LaunchContextIndicesAndDimsPolicyINS7_14IndicesAndDimsILb0ELb0ELb1ELb0EEEEEEEE_Li64ENS_4expt15ForallParamPackIJEEEEEvT_T1_: ; @_ZN4RAJA34launch_new_reduce_global_fcn_fixedIZN8rajaperf4apps8MASS3DEA17runHipVariantImplILm64ELm1EEEvNS1_9VariantIDEEUlNS_14LaunchContextTINS_3hip33LaunchContextIndicesAndDimsPolicyINS7_14IndicesAndDimsILb0ELb0ELb1ELb0EEEEEEEE_Li64ENS_4expt15ForallParamPackIJEEEEEvT_T1_
; %bb.0:
	s_load_dwordx8 s[8:15], s[4:5], 0x0
	s_mov_b32 s7, 0
	v_mov_b32_e32 v5, s6
	v_mov_b32_e32 v6, s7
	s_waitcnt lgkmcnt(0)
	v_cmp_le_i64_e32 vcc, s[8:9], v[5:6]
	s_cbranch_vccnz .LBB2_39
; %bb.1:
	s_load_dwordx2 s[0:1], s[4:5], 0x34
	v_mov_b32_e32 v4, v1
	v_cmp_ne_u32_e32 vcc, 0, v2
                                        ; implicit-def: $vgpr6_vgpr7
	s_waitcnt lgkmcnt(0)
	s_and_b32 s8, s0, 0xffff
	s_and_saveexec_b64 s[2:3], vcc
	s_xor_b64 s[2:3], exec, s[2:3]
; %bb.2:
	s_mov_b32 s9, 0
	v_mov_b32_e32 v6, s8
	v_mov_b32_e32 v1, 0
	;; [unrolled: 1-line block ×3, first 2 shown]
; %bb.3:
	s_or_saveexec_b64 s[16:17], s[2:3]
	s_and_b32 s24, s1, 0xffff
	s_lshr_b32 s25, s0, 16
	s_xor_b64 exec, exec, s[16:17]
	s_cbranch_execz .LBB2_13
; %bb.4:
	v_mov_b32_e32 v1, 0
	v_lshlrev_b32_e32 v6, 3, v4
	v_mov_b32_e32 v7, v1
	v_mad_u64_u32 v[6:7], s[4:5], v0, 40, v[6:7]
	v_mov_b32_e32 v3, s11
	s_cmp_lg_u32 s24, 0
	v_add_co_u32_e32 v6, vcc, s10, v6
	v_addc_co_u32_e32 v7, vcc, v3, v7, vcc
	v_lshlrev_b32_e32 v3, 5, v4
	v_lshlrev_b32_e32 v8, 3, v0
	s_movk_i32 s4, 0x3f0
	s_mov_b32 s9, 0
	v_cmp_gt_u32_e64 s[0:1], 4, v0
	v_cmp_gt_u32_e64 s[2:3], 5, v4
	v_mov_b32_e32 v5, v1
	s_cselect_b64 s[18:19], -1, 0
	s_mul_i32 s26, s8, 40
	s_lshl_b32 s27, s25, 3
	v_add3_u32 v3, v3, v8, s4
	s_lshl_b32 s28, s8, 3
	s_lshl_b32 s29, s25, 5
	s_branch .LBB2_6
.LBB2_5:                                ;   in Loop: Header=BB2_6 Depth=1
	s_or_b64 exec, exec, s[10:11]
	s_andn2_b64 vcc, exec, s[18:19]
	s_cbranch_vccz .LBB2_12
.LBB2_6:                                ; =>This Loop Header: Depth=1
                                        ;     Child Loop BB2_9 Depth 2
                                        ;       Child Loop BB2_11 Depth 3
	s_and_saveexec_b64 s[10:11], s[0:1]
	s_cbranch_execz .LBB2_5
; %bb.7:                                ;   in Loop: Header=BB2_6 Depth=1
	v_mov_b32_e32 v9, v7
	v_mov_b32_e32 v11, v1
	s_mov_b64 s[20:21], 0
	v_mov_b32_e32 v16, v3
	v_mov_b32_e32 v8, v6
	;; [unrolled: 1-line block ×3, first 2 shown]
	s_branch .LBB2_9
.LBB2_8:                                ;   in Loop: Header=BB2_9 Depth=2
	s_or_b64 exec, exec, s[4:5]
	v_add_co_u32_e32 v10, vcc, s8, v10
	v_addc_co_u32_e32 v11, vcc, 0, v11, vcc
	v_cmp_lt_u64_e32 vcc, 3, v[10:11]
	v_add_co_u32_e64 v8, s[4:5], s26, v8
	v_addc_co_u32_e64 v9, s[4:5], 0, v9, s[4:5]
	s_or_b64 s[20:21], vcc, s[20:21]
	v_add_u32_e32 v16, s28, v16
	s_andn2_b64 exec, exec, s[20:21]
	s_cbranch_execz .LBB2_5
.LBB2_9:                                ;   Parent Loop BB2_6 Depth=1
                                        ; =>  This Loop Header: Depth=2
                                        ;       Child Loop BB2_11 Depth 3
	s_and_saveexec_b64 s[4:5], s[2:3]
	s_cbranch_execz .LBB2_8
; %bb.10:                               ;   in Loop: Header=BB2_9 Depth=2
	v_mov_b32_e32 v13, v9
	v_mov_b32_e32 v15, v5
	s_mov_b64 s[22:23], 0
	v_mov_b32_e32 v17, v16
	v_mov_b32_e32 v12, v8
	;; [unrolled: 1-line block ×3, first 2 shown]
.LBB2_11:                               ;   Parent Loop BB2_6 Depth=1
                                        ;     Parent Loop BB2_9 Depth=2
                                        ; =>    This Inner Loop Header: Depth=3
	global_load_dwordx2 v[18:19], v[12:13], off
	v_add_co_u32_e32 v14, vcc, s25, v14
	v_addc_co_u32_e32 v15, vcc, 0, v15, vcc
	v_add_co_u32_e32 v12, vcc, s27, v12
	v_addc_co_u32_e32 v13, vcc, 0, v13, vcc
	v_cmp_lt_u64_e32 vcc, 4, v[14:15]
	s_or_b64 s[22:23], vcc, s[22:23]
	s_waitcnt vmcnt(0)
	ds_write_b64 v17, v[18:19]
	v_add_u32_e32 v17, s29, v17
	s_andn2_b64 exec, exec, s[22:23]
	s_cbranch_execnz .LBB2_11
	s_branch .LBB2_8
.LBB2_12:
	v_mov_b32_e32 v6, s8
	v_mov_b32_e32 v7, s9
.LBB2_13:
	s_or_b64 exec, exec, s[16:17]
	v_mov_b32_e32 v3, 0
	v_cmp_gt_u32_e32 vcc, 5, v0
	s_and_saveexec_b64 s[4:5], vcc
	s_cbranch_execz .LBB2_22
; %bb.14:
	s_movk_i32 s9, 0xc8
	v_mul_lo_u32 v8, v0, s9
	v_mul_u32_u24_e32 v9, 40, v4
	v_lshlrev_b32_e32 v10, 3, v2
	v_mul_lo_u32 v23, v6, s9
	v_add3_u32 v22, v8, v9, v10
	v_mul_hi_u32_u24_e32 v9, 0xc8, v2
	v_mul_u32_u24_e32 v8, 0xc8, v2
	v_mov_b32_e32 v10, 0x3e8
	v_mad_u64_u32 v[8:9], s[2:3], s6, v10, v[8:9]
	v_lshlrev_b64 v[10:11], 3, v[0:1]
	v_mov_b32_e32 v13, v1
	v_mad_u64_u32 v[8:9], s[2:3], v4, 40, v[8:9]
	v_cmp_gt_u32_e32 vcc, 5, v4
	v_mov_b32_e32 v5, v3
	v_add_co_u32_e64 v8, s[2:3], v8, v10
	v_addc_co_u32_e64 v9, s[2:3], v9, v11, s[2:3]
	v_mov_b32_e32 v10, s13
	v_add_co_u32_e64 v8, s[2:3], s12, v8
	v_addc_co_u32_e64 v9, s[2:3], v10, v9, s[2:3]
	v_lshlrev_b64 v[10:11], 3, v[6:7]
	v_cmp_gt_u32_e64 s[0:1], 5, v2
	s_mul_i32 s9, s25, 40
	s_lshl_b32 s22, s24, 3
	s_mul_i32 s23, s24, 0xc8
	s_mov_b64 s[10:11], 0
	v_mov_b32_e32 v12, v0
	s_branch .LBB2_16
.LBB2_15:                               ;   in Loop: Header=BB2_16 Depth=1
	s_or_b64 exec, exec, s[12:13]
	v_add_co_u32_e64 v12, s[2:3], v12, v6
	v_addc_co_u32_e64 v13, s[2:3], v13, v7, s[2:3]
	v_cmp_lt_u64_e64 s[2:3], 4, v[12:13]
	v_add_u32_e32 v22, v22, v23
	s_or_b64 s[10:11], s[2:3], s[10:11]
	v_add_co_u32_e64 v8, s[2:3], v8, v10
	v_addc_co_u32_e64 v9, s[2:3], v9, v11, s[2:3]
	s_andn2_b64 exec, exec, s[10:11]
	s_cbranch_execz .LBB2_22
.LBB2_16:                               ; =>This Loop Header: Depth=1
                                        ;     Child Loop BB2_19 Depth 2
                                        ;       Child Loop BB2_21 Depth 3
	s_and_saveexec_b64 s[12:13], vcc
	s_cbranch_execz .LBB2_15
; %bb.17:                               ;   in Loop: Header=BB2_16 Depth=1
	v_mov_b32_e32 v15, v9
	v_mov_b32_e32 v17, v5
	s_mov_b64 s[16:17], 0
	v_mov_b32_e32 v14, v8
	v_mov_b32_e32 v24, v22
	;; [unrolled: 1-line block ×3, first 2 shown]
	s_branch .LBB2_19
.LBB2_18:                               ;   in Loop: Header=BB2_19 Depth=2
	s_or_b64 exec, exec, s[18:19]
	v_add_co_u32_e64 v16, s[2:3], s25, v16
	v_addc_co_u32_e64 v17, s[2:3], 0, v17, s[2:3]
	v_cmp_lt_u64_e64 s[2:3], 4, v[16:17]
	v_add_u32_e32 v24, s9, v24
	s_or_b64 s[16:17], s[2:3], s[16:17]
	v_add_co_u32_e64 v14, s[2:3], s9, v14
	v_addc_co_u32_e64 v15, s[2:3], 0, v15, s[2:3]
	s_andn2_b64 exec, exec, s[16:17]
	s_cbranch_execz .LBB2_15
.LBB2_19:                               ;   Parent Loop BB2_16 Depth=1
                                        ; =>  This Loop Header: Depth=2
                                        ;       Child Loop BB2_21 Depth 3
	s_and_saveexec_b64 s[18:19], s[0:1]
	s_cbranch_execz .LBB2_18
; %bb.20:                               ;   in Loop: Header=BB2_19 Depth=2
	v_mov_b32_e32 v19, v15
	v_mov_b32_e32 v21, v3
	s_mov_b64 s[20:21], 0
	v_mov_b32_e32 v18, v14
	v_mov_b32_e32 v25, v24
	;; [unrolled: 1-line block ×3, first 2 shown]
.LBB2_21:                               ;   Parent Loop BB2_16 Depth=1
                                        ;     Parent Loop BB2_19 Depth=2
                                        ; =>    This Inner Loop Header: Depth=3
	global_load_dwordx2 v[26:27], v[18:19], off
	v_add_co_u32_e64 v20, s[2:3], s24, v20
	v_addc_co_u32_e64 v21, s[2:3], 0, v21, s[2:3]
	v_add_co_u32_e64 v18, s[2:3], s23, v18
	v_addc_co_u32_e64 v19, s[2:3], 0, v19, s[2:3]
	v_cmp_lt_u64_e64 s[2:3], 4, v[20:21]
	s_or_b64 s[20:21], s[2:3], s[20:21]
	s_waitcnt vmcnt(0)
	ds_write_b64 v25, v[26:27]
	v_add_u32_e32 v25, s22, v25
	s_andn2_b64 exec, exec, s[20:21]
	s_cbranch_execnz .LBB2_21
	s_branch .LBB2_18
.LBB2_22:
	s_or_b64 exec, exec, s[4:5]
	v_cmp_gt_u32_e32 vcc, 4, v0
	s_waitcnt lgkmcnt(0)
	; wave barrier
	s_and_saveexec_b64 s[0:1], vcc
	s_cbranch_execz .LBB2_39
; %bb.23:
	s_lshl_b64 s[2:3], s[6:7], 15
	s_add_u32 s9, s14, s2
	v_mov_b32_e32 v6, 0x3f0
	v_cmp_gt_u32_e32 vcc, 4, v4
	v_mov_b32_e32 v5, 0
	v_cmp_gt_u32_e64 s[0:1], 4, v2
	s_addc_u32 s22, s15, s3
	v_lshl_add_u32 v52, v0, 3, v6
	s_lshl_b32 s23, s8, 3
	s_mov_b64 s[4:5], 0
	s_branch .LBB2_25
.LBB2_24:                               ;   in Loop: Header=BB2_25 Depth=1
	s_or_b64 exec, exec, s[6:7]
	v_add_co_u32_e64 v0, s[2:3], s8, v0
	v_addc_co_u32_e64 v1, s[2:3], 0, v1, s[2:3]
	v_cmp_lt_u64_e64 s[2:3], 3, v[0:1]
	v_add_u32_e32 v52, s23, v52
	s_or_b64 s[4:5], s[2:3], s[4:5]
	s_andn2_b64 exec, exec, s[4:5]
	s_cbranch_execz .LBB2_39
.LBB2_25:                               ; =>This Loop Header: Depth=1
                                        ;     Child Loop BB2_28 Depth 2
                                        ;       Child Loop BB2_30 Depth 3
                                        ;         Child Loop BB2_31 Depth 4
                                        ;           Child Loop BB2_32 Depth 5
                                        ;             Child Loop BB2_33 Depth 6
                                        ;               Child Loop BB2_34 Depth 7
	s_and_saveexec_b64 s[6:7], vcc
	s_cbranch_execz .LBB2_24
; %bb.26:                               ;   in Loop: Header=BB2_25 Depth=1
	v_lshlrev_b64 v[6:7], 3, v[0:1]
	v_mov_b32_e32 v8, s22
	v_add_co_u32_e64 v53, s[2:3], s9, v6
	v_mov_b32_e32 v39, v5
	v_addc_co_u32_e64 v54, s[2:3], v8, v7, s[2:3]
	s_mov_b64 s[10:11], 0
	v_mov_b32_e32 v38, v4
	s_branch .LBB2_28
.LBB2_27:                               ;   in Loop: Header=BB2_28 Depth=2
	s_or_b64 exec, exec, s[12:13]
	v_add_co_u32_e64 v38, s[2:3], s25, v38
	v_addc_co_u32_e64 v39, s[2:3], 0, v39, s[2:3]
	v_cmp_lt_u64_e64 s[2:3], 3, v[38:39]
	s_or_b64 s[10:11], s[2:3], s[10:11]
	s_andn2_b64 exec, exec, s[10:11]
	s_cbranch_execz .LBB2_24
.LBB2_28:                               ;   Parent Loop BB2_25 Depth=1
                                        ; =>  This Loop Header: Depth=2
                                        ;       Child Loop BB2_30 Depth 3
                                        ;         Child Loop BB2_31 Depth 4
                                        ;           Child Loop BB2_32 Depth 5
                                        ;             Child Loop BB2_33 Depth 6
                                        ;               Child Loop BB2_34 Depth 7
	s_and_saveexec_b64 s[12:13], s[0:1]
	s_cbranch_execz .LBB2_27
; %bb.29:                               ;   in Loop: Header=BB2_28 Depth=2
	v_lshlrev_b32_e32 v16, 3, v38
	ds_read2_b64 v[6:9], v16 offset0:126 offset1:130
	ds_read2_b64 v[10:13], v16 offset0:134 offset1:138
	ds_read_b64 v[40:41], v16 offset:1136
	v_lshlrev_b64 v[14:15], 5, v[38:39]
	v_mov_b32_e32 v43, v3
	v_add_co_u32_e64 v55, s[2:3], v53, v14
	v_addc_co_u32_e64 v56, s[2:3], v54, v15, s[2:3]
	s_mov_b64 s[14:15], 0
	v_mov_b32_e32 v42, v2
.LBB2_30:                               ;   Parent Loop BB2_25 Depth=1
                                        ;     Parent Loop BB2_28 Depth=2
                                        ; =>    This Loop Header: Depth=3
                                        ;         Child Loop BB2_31 Depth 4
                                        ;           Child Loop BB2_32 Depth 5
                                        ;             Child Loop BB2_33 Depth 6
                                        ;               Child Loop BB2_34 Depth 7
	v_lshlrev_b32_e32 v24, 3, v42
	ds_read2_b64 v[14:17], v24 offset0:126 offset1:130
	ds_read2_b64 v[18:21], v24 offset0:134 offset1:138
	ds_read_b64 v[44:45], v24 offset:1136
	v_lshlrev_b64 v[22:23], 7, v[42:43]
	s_movk_i32 s26, 0x3f0
	v_add_co_u32_e64 v57, s[2:3], v55, v22
	v_addc_co_u32_e64 v58, s[2:3], v56, v23, s[2:3]
	s_mov_b64 s[16:17], 0
.LBB2_31:                               ;   Parent Loop BB2_25 Depth=1
                                        ;     Parent Loop BB2_28 Depth=2
                                        ;       Parent Loop BB2_30 Depth=3
                                        ; =>      This Loop Header: Depth=4
                                        ;           Child Loop BB2_32 Depth 5
                                        ;             Child Loop BB2_33 Depth 6
                                        ;               Child Loop BB2_34 Depth 7
	s_lshl_b64 s[2:3], s[16:17], 9
	v_mov_b32_e32 v22, s3
	v_add_co_u32_e64 v59, s[2:3], s2, v57
	v_addc_co_u32_e64 v60, s[2:3], v58, v22, s[2:3]
	s_mov_b64 s[18:19], 0
.LBB2_32:                               ;   Parent Loop BB2_25 Depth=1
                                        ;     Parent Loop BB2_28 Depth=2
                                        ;       Parent Loop BB2_30 Depth=3
                                        ;         Parent Loop BB2_31 Depth=4
                                        ; =>        This Loop Header: Depth=5
                                        ;             Child Loop BB2_33 Depth 6
                                        ;               Child Loop BB2_34 Depth 7
	s_lshl_b32 s20, s18, 3
	v_mov_b32_e32 v31, s20
	ds_read2_b64 v[22:25], v31 offset0:126 offset1:130
	ds_read2_b64 v[26:29], v31 offset0:134 offset1:138
	ds_read_b64 v[46:47], v31 offset:1136
	s_lshl_b64 s[2:3], s[18:19], 11
	v_mov_b32_e32 v30, s3
	v_add_co_u32_e64 v61, s[2:3], s2, v59
	v_addc_co_u32_e64 v62, s[2:3], v60, v30, s[2:3]
	s_mov_b64 s[20:21], 0
.LBB2_33:                               ;   Parent Loop BB2_25 Depth=1
                                        ;     Parent Loop BB2_28 Depth=2
                                        ;       Parent Loop BB2_30 Depth=3
                                        ;         Parent Loop BB2_31 Depth=4
                                        ;           Parent Loop BB2_32 Depth=5
                                        ; =>          This Loop Header: Depth=6
                                        ;               Child Loop BB2_34 Depth 7
	s_lshl_b32 s2, s20, 3
	v_mov_b32_e32 v48, s2
	ds_read2_b64 v[30:33], v48 offset0:126 offset1:130
	ds_read2_b64 v[34:37], v48 offset0:134 offset1:138
	ds_read_b64 v[48:49], v48 offset:1136
	v_mov_b32_e32 v50, 0
	v_mov_b32_e32 v51, 0
	s_mov_b64 s[2:3], 5
	s_mov_b32 s27, 0
	v_mov_b32_e32 v63, v52
	s_mov_b32 s28, s26
.LBB2_34:                               ;   Parent Loop BB2_25 Depth=1
                                        ;     Parent Loop BB2_28 Depth=2
                                        ;       Parent Loop BB2_30 Depth=3
                                        ;         Parent Loop BB2_31 Depth=4
                                        ;           Parent Loop BB2_32 Depth=5
                                        ;             Parent Loop BB2_33 Depth=6
                                        ; =>            This Inner Loop Header: Depth=7
	v_mov_b32_e32 v66, s28
	ds_read_b64 v[64:65], v63
	ds_read_b64 v[66:67], v66
	v_mov_b32_e32 v74, s27
	s_add_u32 s2, s2, -1
	s_addc_u32 s3, s3, -1
	s_addk_i32 s27, 0xc8
	s_waitcnt lgkmcnt(0)
	v_mul_f64 v[68:69], v[64:65], v[66:67]
	s_add_i32 s28, s28, 32
	s_cmp_lg_u64 s[2:3], 0
	v_add_u32_e32 v63, 32, v63
	v_mul_f64 v[64:65], v[6:7], v[68:69]
	v_mul_f64 v[70:71], v[22:23], v[64:65]
	;; [unrolled: 1-line block ×4, first 2 shown]
	ds_read2_b64 v[64:67], v74 offset1:1
	s_waitcnt lgkmcnt(0)
	v_fma_f64 v[50:51], v[64:65], v[72:73], v[50:51]
	v_mul_f64 v[64:65], v[16:17], v[70:71]
	v_mul_f64 v[64:65], v[32:33], v[64:65]
	v_fma_f64 v[50:51], v[66:67], v[64:65], v[50:51]
	v_mul_f64 v[64:65], v[18:19], v[70:71]
	v_mul_f64 v[72:73], v[34:35], v[64:65]
	ds_read2_b64 v[64:67], v74 offset0:2 offset1:3
	s_waitcnt lgkmcnt(0)
	v_fma_f64 v[50:51], v[64:65], v[72:73], v[50:51]
	v_mul_f64 v[64:65], v[20:21], v[70:71]
	v_mul_f64 v[70:71], v[44:45], v[70:71]
	;; [unrolled: 1-line block ×4, first 2 shown]
	v_fma_f64 v[50:51], v[66:67], v[64:65], v[50:51]
	ds_read2_b64 v[64:67], v74 offset0:4 offset1:5
	s_waitcnt lgkmcnt(0)
	v_fma_f64 v[50:51], v[70:71], v[64:65], v[50:51]
	v_mul_f64 v[64:65], v[8:9], v[68:69]
	v_mul_f64 v[70:71], v[24:25], v[64:65]
	;; [unrolled: 1-line block ×4, first 2 shown]
	v_fma_f64 v[50:51], v[64:65], v[66:67], v[50:51]
	v_mul_f64 v[64:65], v[16:17], v[70:71]
	v_mul_f64 v[72:73], v[32:33], v[64:65]
	ds_read2_b64 v[64:67], v74 offset0:6 offset1:7
	s_waitcnt lgkmcnt(0)
	v_fma_f64 v[50:51], v[72:73], v[64:65], v[50:51]
	v_mul_f64 v[64:65], v[18:19], v[70:71]
	v_mul_f64 v[64:65], v[34:35], v[64:65]
	v_fma_f64 v[50:51], v[64:65], v[66:67], v[50:51]
	v_mul_f64 v[64:65], v[20:21], v[70:71]
	v_mul_f64 v[72:73], v[36:37], v[64:65]
	ds_read2_b64 v[64:67], v74 offset0:8 offset1:9
	s_waitcnt lgkmcnt(0)
	v_fma_f64 v[50:51], v[72:73], v[64:65], v[50:51]
	v_mul_f64 v[64:65], v[44:45], v[70:71]
	v_mul_f64 v[64:65], v[48:49], v[64:65]
	v_fma_f64 v[50:51], v[64:65], v[66:67], v[50:51]
	v_mul_f64 v[64:65], v[10:11], v[68:69]
	v_mul_f64 v[70:71], v[26:27], v[64:65]
	;; [unrolled: 1-line block ×4, first 2 shown]
	ds_read2_b64 v[64:67], v74 offset0:10 offset1:11
	s_waitcnt lgkmcnt(0)
	v_fma_f64 v[50:51], v[72:73], v[64:65], v[50:51]
	v_mul_f64 v[64:65], v[16:17], v[70:71]
	v_mul_f64 v[64:65], v[32:33], v[64:65]
	v_fma_f64 v[50:51], v[64:65], v[66:67], v[50:51]
	v_mul_f64 v[64:65], v[18:19], v[70:71]
	v_mul_f64 v[72:73], v[34:35], v[64:65]
	ds_read2_b64 v[64:67], v74 offset0:12 offset1:13
	s_waitcnt lgkmcnt(0)
	v_fma_f64 v[50:51], v[72:73], v[64:65], v[50:51]
	v_mul_f64 v[64:65], v[20:21], v[70:71]
	v_mul_f64 v[70:71], v[44:45], v[70:71]
	;; [unrolled: 1-line block ×4, first 2 shown]
	v_fma_f64 v[50:51], v[64:65], v[66:67], v[50:51]
	ds_read2_b64 v[64:67], v74 offset0:14 offset1:15
	s_waitcnt lgkmcnt(0)
	v_fma_f64 v[50:51], v[70:71], v[64:65], v[50:51]
	v_mul_f64 v[64:65], v[12:13], v[68:69]
	v_mul_f64 v[68:69], v[40:41], v[68:69]
	v_mul_f64 v[70:71], v[28:29], v[64:65]
	v_mul_f64 v[68:69], v[46:47], v[68:69]
	v_mul_f64 v[64:65], v[14:15], v[70:71]
	v_mul_f64 v[64:65], v[30:31], v[64:65]
	v_fma_f64 v[50:51], v[64:65], v[66:67], v[50:51]
	v_mul_f64 v[64:65], v[16:17], v[70:71]
	v_mul_f64 v[72:73], v[32:33], v[64:65]
	ds_read2_b64 v[64:67], v74 offset0:16 offset1:17
	s_waitcnt lgkmcnt(0)
	v_fma_f64 v[50:51], v[72:73], v[64:65], v[50:51]
	v_mul_f64 v[64:65], v[18:19], v[70:71]
	v_mul_f64 v[64:65], v[34:35], v[64:65]
	v_fma_f64 v[50:51], v[64:65], v[66:67], v[50:51]
	v_mul_f64 v[64:65], v[20:21], v[70:71]
	v_mul_f64 v[72:73], v[36:37], v[64:65]
	ds_read2_b64 v[64:67], v74 offset0:18 offset1:19
	s_waitcnt lgkmcnt(0)
	v_fma_f64 v[50:51], v[72:73], v[64:65], v[50:51]
	v_mul_f64 v[64:65], v[44:45], v[70:71]
	v_mul_f64 v[70:71], v[14:15], v[68:69]
	v_mul_f64 v[64:65], v[48:49], v[64:65]
	v_mul_f64 v[70:71], v[30:31], v[70:71]
	v_fma_f64 v[50:51], v[64:65], v[66:67], v[50:51]
	ds_read2_b64 v[64:67], v74 offset0:20 offset1:21
	s_waitcnt lgkmcnt(0)
	v_fma_f64 v[50:51], v[70:71], v[64:65], v[50:51]
	v_mul_f64 v[64:65], v[16:17], v[68:69]
	v_mul_f64 v[70:71], v[18:19], v[68:69]
	v_mul_f64 v[64:65], v[32:33], v[64:65]
	v_mul_f64 v[70:71], v[34:35], v[70:71]
	v_fma_f64 v[50:51], v[64:65], v[66:67], v[50:51]
	;; [unrolled: 8-line block ×3, first 2 shown]
	ds_read_b64 v[64:65], v74 offset:192
	s_waitcnt lgkmcnt(0)
	v_fma_f64 v[50:51], v[68:69], v[64:65], v[50:51]
	s_cbranch_scc1 .LBB2_34
; %bb.35:                               ;   in Loop: Header=BB2_33 Depth=6
	s_lshl_b64 s[2:3], s[20:21], 13
	s_add_u32 s20, s20, 1
	v_mov_b32_e32 v31, s3
	v_add_co_u32_e64 v30, s[2:3], s2, v61
	s_addc_u32 s21, s21, 0
	v_addc_co_u32_e64 v31, s[2:3], v62, v31, s[2:3]
	s_cmp_eq_u64 s[20:21], 4
	global_store_dwordx2 v[30:31], v[50:51], off
	s_cbranch_scc0 .LBB2_33
; %bb.36:                               ;   in Loop: Header=BB2_32 Depth=5
	s_add_u32 s18, s18, 1
	s_addc_u32 s19, s19, 0
	s_cmp_eq_u64 s[18:19], 4
	s_cbranch_scc0 .LBB2_32
; %bb.37:                               ;   in Loop: Header=BB2_31 Depth=4
	s_add_u32 s16, s16, 1
	s_addc_u32 s17, s17, 0
	s_add_i32 s26, s26, 8
	s_cmp_eq_u64 s[16:17], 4
	s_cbranch_scc0 .LBB2_31
; %bb.38:                               ;   in Loop: Header=BB2_30 Depth=3
	v_add_co_u32_e64 v42, s[2:3], s24, v42
	v_addc_co_u32_e64 v43, s[2:3], 0, v43, s[2:3]
	v_cmp_lt_u64_e64 s[2:3], 3, v[42:43]
	s_or_b64 s[14:15], s[2:3], s[14:15]
	s_andn2_b64 exec, exec, s[14:15]
	s_cbranch_execnz .LBB2_30
	s_branch .LBB2_27
.LBB2_39:
	s_endpgm
	.section	.rodata,"a",@progbits
	.p2align	6, 0x0
	.amdhsa_kernel _ZN4RAJA34launch_new_reduce_global_fcn_fixedIZN8rajaperf4apps8MASS3DEA17runHipVariantImplILm64ELm1EEEvNS1_9VariantIDEEUlNS_14LaunchContextTINS_3hip33LaunchContextIndicesAndDimsPolicyINS7_14IndicesAndDimsILb0ELb0ELb1ELb0EEEEEEEE_Li64ENS_4expt15ForallParamPackIJEEEEEvT_T1_
		.amdhsa_group_segment_fixed_size 1168
		.amdhsa_private_segment_fixed_size 0
		.amdhsa_kernarg_size 296
		.amdhsa_user_sgpr_count 6
		.amdhsa_user_sgpr_private_segment_buffer 1
		.amdhsa_user_sgpr_dispatch_ptr 0
		.amdhsa_user_sgpr_queue_ptr 0
		.amdhsa_user_sgpr_kernarg_segment_ptr 1
		.amdhsa_user_sgpr_dispatch_id 0
		.amdhsa_user_sgpr_flat_scratch_init 0
		.amdhsa_user_sgpr_private_segment_size 0
		.amdhsa_uses_dynamic_stack 0
		.amdhsa_system_sgpr_private_segment_wavefront_offset 0
		.amdhsa_system_sgpr_workgroup_id_x 1
		.amdhsa_system_sgpr_workgroup_id_y 0
		.amdhsa_system_sgpr_workgroup_id_z 0
		.amdhsa_system_sgpr_workgroup_info 0
		.amdhsa_system_vgpr_workitem_id 2
		.amdhsa_next_free_vgpr 75
		.amdhsa_next_free_sgpr 30
		.amdhsa_reserve_vcc 1
		.amdhsa_reserve_flat_scratch 0
		.amdhsa_float_round_mode_32 0
		.amdhsa_float_round_mode_16_64 0
		.amdhsa_float_denorm_mode_32 3
		.amdhsa_float_denorm_mode_16_64 3
		.amdhsa_dx10_clamp 1
		.amdhsa_ieee_mode 1
		.amdhsa_fp16_overflow 0
		.amdhsa_exception_fp_ieee_invalid_op 0
		.amdhsa_exception_fp_denorm_src 0
		.amdhsa_exception_fp_ieee_div_zero 0
		.amdhsa_exception_fp_ieee_overflow 0
		.amdhsa_exception_fp_ieee_underflow 0
		.amdhsa_exception_fp_ieee_inexact 0
		.amdhsa_exception_int_div_zero 0
	.end_amdhsa_kernel
	.section	.text._ZN4RAJA34launch_new_reduce_global_fcn_fixedIZN8rajaperf4apps8MASS3DEA17runHipVariantImplILm64ELm1EEEvNS1_9VariantIDEEUlNS_14LaunchContextTINS_3hip33LaunchContextIndicesAndDimsPolicyINS7_14IndicesAndDimsILb0ELb0ELb1ELb0EEEEEEEE_Li64ENS_4expt15ForallParamPackIJEEEEEvT_T1_,"axG",@progbits,_ZN4RAJA34launch_new_reduce_global_fcn_fixedIZN8rajaperf4apps8MASS3DEA17runHipVariantImplILm64ELm1EEEvNS1_9VariantIDEEUlNS_14LaunchContextTINS_3hip33LaunchContextIndicesAndDimsPolicyINS7_14IndicesAndDimsILb0ELb0ELb1ELb0EEEEEEEE_Li64ENS_4expt15ForallParamPackIJEEEEEvT_T1_,comdat
.Lfunc_end2:
	.size	_ZN4RAJA34launch_new_reduce_global_fcn_fixedIZN8rajaperf4apps8MASS3DEA17runHipVariantImplILm64ELm1EEEvNS1_9VariantIDEEUlNS_14LaunchContextTINS_3hip33LaunchContextIndicesAndDimsPolicyINS7_14IndicesAndDimsILb0ELb0ELb1ELb0EEEEEEEE_Li64ENS_4expt15ForallParamPackIJEEEEEvT_T1_, .Lfunc_end2-_ZN4RAJA34launch_new_reduce_global_fcn_fixedIZN8rajaperf4apps8MASS3DEA17runHipVariantImplILm64ELm1EEEvNS1_9VariantIDEEUlNS_14LaunchContextTINS_3hip33LaunchContextIndicesAndDimsPolicyINS7_14IndicesAndDimsILb0ELb0ELb1ELb0EEEEEEEE_Li64ENS_4expt15ForallParamPackIJEEEEEvT_T1_
                                        ; -- End function
	.set _ZN4RAJA34launch_new_reduce_global_fcn_fixedIZN8rajaperf4apps8MASS3DEA17runHipVariantImplILm64ELm1EEEvNS1_9VariantIDEEUlNS_14LaunchContextTINS_3hip33LaunchContextIndicesAndDimsPolicyINS7_14IndicesAndDimsILb0ELb0ELb1ELb0EEEEEEEE_Li64ENS_4expt15ForallParamPackIJEEEEEvT_T1_.num_vgpr, 75
	.set _ZN4RAJA34launch_new_reduce_global_fcn_fixedIZN8rajaperf4apps8MASS3DEA17runHipVariantImplILm64ELm1EEEvNS1_9VariantIDEEUlNS_14LaunchContextTINS_3hip33LaunchContextIndicesAndDimsPolicyINS7_14IndicesAndDimsILb0ELb0ELb1ELb0EEEEEEEE_Li64ENS_4expt15ForallParamPackIJEEEEEvT_T1_.num_agpr, 0
	.set _ZN4RAJA34launch_new_reduce_global_fcn_fixedIZN8rajaperf4apps8MASS3DEA17runHipVariantImplILm64ELm1EEEvNS1_9VariantIDEEUlNS_14LaunchContextTINS_3hip33LaunchContextIndicesAndDimsPolicyINS7_14IndicesAndDimsILb0ELb0ELb1ELb0EEEEEEEE_Li64ENS_4expt15ForallParamPackIJEEEEEvT_T1_.numbered_sgpr, 30
	.set _ZN4RAJA34launch_new_reduce_global_fcn_fixedIZN8rajaperf4apps8MASS3DEA17runHipVariantImplILm64ELm1EEEvNS1_9VariantIDEEUlNS_14LaunchContextTINS_3hip33LaunchContextIndicesAndDimsPolicyINS7_14IndicesAndDimsILb0ELb0ELb1ELb0EEEEEEEE_Li64ENS_4expt15ForallParamPackIJEEEEEvT_T1_.num_named_barrier, 0
	.set _ZN4RAJA34launch_new_reduce_global_fcn_fixedIZN8rajaperf4apps8MASS3DEA17runHipVariantImplILm64ELm1EEEvNS1_9VariantIDEEUlNS_14LaunchContextTINS_3hip33LaunchContextIndicesAndDimsPolicyINS7_14IndicesAndDimsILb0ELb0ELb1ELb0EEEEEEEE_Li64ENS_4expt15ForallParamPackIJEEEEEvT_T1_.private_seg_size, 0
	.set _ZN4RAJA34launch_new_reduce_global_fcn_fixedIZN8rajaperf4apps8MASS3DEA17runHipVariantImplILm64ELm1EEEvNS1_9VariantIDEEUlNS_14LaunchContextTINS_3hip33LaunchContextIndicesAndDimsPolicyINS7_14IndicesAndDimsILb0ELb0ELb1ELb0EEEEEEEE_Li64ENS_4expt15ForallParamPackIJEEEEEvT_T1_.uses_vcc, 1
	.set _ZN4RAJA34launch_new_reduce_global_fcn_fixedIZN8rajaperf4apps8MASS3DEA17runHipVariantImplILm64ELm1EEEvNS1_9VariantIDEEUlNS_14LaunchContextTINS_3hip33LaunchContextIndicesAndDimsPolicyINS7_14IndicesAndDimsILb0ELb0ELb1ELb0EEEEEEEE_Li64ENS_4expt15ForallParamPackIJEEEEEvT_T1_.uses_flat_scratch, 0
	.set _ZN4RAJA34launch_new_reduce_global_fcn_fixedIZN8rajaperf4apps8MASS3DEA17runHipVariantImplILm64ELm1EEEvNS1_9VariantIDEEUlNS_14LaunchContextTINS_3hip33LaunchContextIndicesAndDimsPolicyINS7_14IndicesAndDimsILb0ELb0ELb1ELb0EEEEEEEE_Li64ENS_4expt15ForallParamPackIJEEEEEvT_T1_.has_dyn_sized_stack, 0
	.set _ZN4RAJA34launch_new_reduce_global_fcn_fixedIZN8rajaperf4apps8MASS3DEA17runHipVariantImplILm64ELm1EEEvNS1_9VariantIDEEUlNS_14LaunchContextTINS_3hip33LaunchContextIndicesAndDimsPolicyINS7_14IndicesAndDimsILb0ELb0ELb1ELb0EEEEEEEE_Li64ENS_4expt15ForallParamPackIJEEEEEvT_T1_.has_recursion, 0
	.set _ZN4RAJA34launch_new_reduce_global_fcn_fixedIZN8rajaperf4apps8MASS3DEA17runHipVariantImplILm64ELm1EEEvNS1_9VariantIDEEUlNS_14LaunchContextTINS_3hip33LaunchContextIndicesAndDimsPolicyINS7_14IndicesAndDimsILb0ELb0ELb1ELb0EEEEEEEE_Li64ENS_4expt15ForallParamPackIJEEEEEvT_T1_.has_indirect_call, 0
	.section	.AMDGPU.csdata,"",@progbits
; Kernel info:
; codeLenInByte = 2388
; TotalNumSgprs: 34
; NumVgprs: 75
; ScratchSize: 0
; MemoryBound: 0
; FloatMode: 240
; IeeeMode: 1
; LDSByteSize: 1168 bytes/workgroup (compile time only)
; SGPRBlocks: 4
; VGPRBlocks: 18
; NumSGPRsForWavesPerEU: 34
; NumVGPRsForWavesPerEU: 75
; Occupancy: 3
; WaveLimiterHint : 0
; COMPUTE_PGM_RSRC2:SCRATCH_EN: 0
; COMPUTE_PGM_RSRC2:USER_SGPR: 6
; COMPUTE_PGM_RSRC2:TRAP_HANDLER: 0
; COMPUTE_PGM_RSRC2:TGID_X_EN: 1
; COMPUTE_PGM_RSRC2:TGID_Y_EN: 0
; COMPUTE_PGM_RSRC2:TGID_Z_EN: 0
; COMPUTE_PGM_RSRC2:TIDIG_COMP_CNT: 2
	.section	.AMDGPU.gpr_maximums,"",@progbits
	.set amdgpu.max_num_vgpr, 0
	.set amdgpu.max_num_agpr, 0
	.set amdgpu.max_num_sgpr, 0
	.section	.AMDGPU.csdata,"",@progbits
	.type	__hip_cuid_361bdc54f38a4a91,@object ; @__hip_cuid_361bdc54f38a4a91
	.section	.bss,"aw",@nobits
	.globl	__hip_cuid_361bdc54f38a4a91
__hip_cuid_361bdc54f38a4a91:
	.byte	0                               ; 0x0
	.size	__hip_cuid_361bdc54f38a4a91, 1

	.ident	"AMD clang version 22.0.0git (https://github.com/RadeonOpenCompute/llvm-project roc-7.2.4 26084 f58b06dce1f9c15707c5f808fd002e18c2accf7e)"
	.section	".note.GNU-stack","",@progbits
	.addrsig
	.addrsig_sym __hip_cuid_361bdc54f38a4a91
	.amdgpu_metadata
---
amdhsa.kernels:
  - .args:
      - .address_space:  global
        .offset:         0
        .size:           8
        .value_kind:     global_buffer
      - .address_space:  global
        .offset:         8
        .size:           8
        .value_kind:     global_buffer
      - .address_space:  global
        .offset:         16
        .size:           8
        .value_kind:     global_buffer
    .group_segment_fixed_size: 1168
    .kernarg_segment_align: 8
    .kernarg_segment_size: 24
    .language:       OpenCL C
    .language_version:
      - 2
      - 0
    .max_flat_workgroup_size: 64
    .name:           _ZN8rajaperf4apps8Mass3DEAILm64EEEvPdS2_S2_
    .private_segment_fixed_size: 0
    .sgpr_count:     27
    .sgpr_spill_count: 0
    .symbol:         _ZN8rajaperf4apps8Mass3DEAILm64EEEvPdS2_S2_.kd
    .uniform_work_group_size: 1
    .uses_dynamic_stack: false
    .vgpr_count:     100
    .vgpr_spill_count: 0
    .wavefront_size: 64
  - .args:
      - .offset:         0
        .size:           32
        .value_kind:     by_value
      - .offset:         32
        .size:           1
        .value_kind:     by_value
    .group_segment_fixed_size: 1168
    .kernarg_segment_align: 8
    .kernarg_segment_size: 36
    .language:       OpenCL C
    .language_version:
      - 2
      - 0
    .max_flat_workgroup_size: 64
    .name:           _ZN4RAJA34launch_new_reduce_global_fcn_fixedIZN8rajaperf4apps8MASS3DEA17runHipVariantImplILm64ELm0EEEvNS1_9VariantIDEEUlNS_14LaunchContextTINS_3hip33LaunchContextIndicesAndDimsPolicyINS7_14IndicesAndDimsILb0ELb0ELb0ELb0EEEEEEEE_Li64ENS_4expt15ForallParamPackIJEEEEEvT_T1_
    .private_segment_fixed_size: 5140
    .sgpr_count:     32
    .sgpr_spill_count: 0
    .symbol:         _ZN4RAJA34launch_new_reduce_global_fcn_fixedIZN8rajaperf4apps8MASS3DEA17runHipVariantImplILm64ELm0EEEvNS1_9VariantIDEEUlNS_14LaunchContextTINS_3hip33LaunchContextIndicesAndDimsPolicyINS7_14IndicesAndDimsILb0ELb0ELb0ELb0EEEEEEEE_Li64ENS_4expt15ForallParamPackIJEEEEEvT_T1_.kd
    .uniform_work_group_size: 1
    .uses_dynamic_stack: false
    .vgpr_count:     256
    .vgpr_spill_count: 1542
    .wavefront_size: 64
  - .args:
      - .offset:         0
        .size:           32
        .value_kind:     by_value
      - .offset:         32
        .size:           1
        .value_kind:     by_value
      - .offset:         40
        .size:           4
        .value_kind:     hidden_block_count_x
      - .offset:         44
        .size:           4
        .value_kind:     hidden_block_count_y
      - .offset:         48
        .size:           4
        .value_kind:     hidden_block_count_z
      - .offset:         52
        .size:           2
        .value_kind:     hidden_group_size_x
      - .offset:         54
        .size:           2
        .value_kind:     hidden_group_size_y
      - .offset:         56
        .size:           2
        .value_kind:     hidden_group_size_z
      - .offset:         58
        .size:           2
        .value_kind:     hidden_remainder_x
      - .offset:         60
        .size:           2
        .value_kind:     hidden_remainder_y
      - .offset:         62
        .size:           2
        .value_kind:     hidden_remainder_z
      - .offset:         80
        .size:           8
        .value_kind:     hidden_global_offset_x
      - .offset:         88
        .size:           8
        .value_kind:     hidden_global_offset_y
      - .offset:         96
        .size:           8
        .value_kind:     hidden_global_offset_z
      - .offset:         104
        .size:           2
        .value_kind:     hidden_grid_dims
    .group_segment_fixed_size: 1168
    .kernarg_segment_align: 8
    .kernarg_segment_size: 296
    .language:       OpenCL C
    .language_version:
      - 2
      - 0
    .max_flat_workgroup_size: 64
    .name:           _ZN4RAJA34launch_new_reduce_global_fcn_fixedIZN8rajaperf4apps8MASS3DEA17runHipVariantImplILm64ELm1EEEvNS1_9VariantIDEEUlNS_14LaunchContextTINS_3hip33LaunchContextIndicesAndDimsPolicyINS7_14IndicesAndDimsILb0ELb0ELb1ELb0EEEEEEEE_Li64ENS_4expt15ForallParamPackIJEEEEEvT_T1_
    .private_segment_fixed_size: 0
    .sgpr_count:     34
    .sgpr_spill_count: 0
    .symbol:         _ZN4RAJA34launch_new_reduce_global_fcn_fixedIZN8rajaperf4apps8MASS3DEA17runHipVariantImplILm64ELm1EEEvNS1_9VariantIDEEUlNS_14LaunchContextTINS_3hip33LaunchContextIndicesAndDimsPolicyINS7_14IndicesAndDimsILb0ELb0ELb1ELb0EEEEEEEE_Li64ENS_4expt15ForallParamPackIJEEEEEvT_T1_.kd
    .uniform_work_group_size: 1
    .uses_dynamic_stack: false
    .vgpr_count:     75
    .vgpr_spill_count: 0
    .wavefront_size: 64
amdhsa.target:   amdgcn-amd-amdhsa--gfx906
amdhsa.version:
  - 1
  - 2
...

	.end_amdgpu_metadata
